;; amdgpu-corpus repo=ROCm/rocFFT kind=compiled arch=gfx1201 opt=O3
	.text
	.amdgcn_target "amdgcn-amd-amdhsa--gfx1201"
	.amdhsa_code_object_version 6
	.protected	bluestein_single_fwd_len221_dim1_sp_op_CI_CI ; -- Begin function bluestein_single_fwd_len221_dim1_sp_op_CI_CI
	.globl	bluestein_single_fwd_len221_dim1_sp_op_CI_CI
	.p2align	8
	.type	bluestein_single_fwd_len221_dim1_sp_op_CI_CI,@function
bluestein_single_fwd_len221_dim1_sp_op_CI_CI: ; @bluestein_single_fwd_len221_dim1_sp_op_CI_CI
; %bb.0:
	s_load_b128 s[4:7], s[0:1], 0x28
	v_mul_u32_u24_e32 v1, 0xf10, v0
	s_mov_b32 s2, exec_lo
	s_delay_alu instid0(VALU_DEP_1) | instskip(NEXT) | instid1(VALU_DEP_1)
	v_lshrrev_b32_e32 v1, 16, v1
	v_mad_co_u64_u32 v[56:57], null, ttmp9, 7, v[1:2]
	v_mov_b32_e32 v57, 0
	s_wait_kmcnt 0x0
	s_delay_alu instid0(VALU_DEP_1)
	v_cmpx_gt_u64_e64 s[4:5], v[56:57]
	s_cbranch_execz .LBB0_15
; %bb.1:
	v_mul_hi_u32 v2, 0x24924925, v56
	v_mul_lo_u16 v1, v1, 17
	s_clause 0x1
	s_load_b64 s[4:5], s[0:1], 0x0
	s_load_b64 s[12:13], s[0:1], 0x38
	s_delay_alu instid0(VALU_DEP_1) | instskip(NEXT) | instid1(VALU_DEP_3)
	v_sub_nc_u16 v0, v0, v1
	v_sub_nc_u32_e32 v3, v56, v2
	s_delay_alu instid0(VALU_DEP_2) | instskip(SKIP_1) | instid1(VALU_DEP_3)
	v_and_b32_e32 v75, 0xffff, v0
	v_cmp_gt_u16_e32 vcc_lo, 13, v0
	v_lshrrev_b32_e32 v3, 1, v3
	s_delay_alu instid0(VALU_DEP_3) | instskip(SKIP_1) | instid1(VALU_DEP_3)
	v_lshlrev_b32_e32 v74, 3, v75
	v_or_b32_e32 v73, 0xd0, v75
	v_add_nc_u32_e32 v2, v3, v2
	s_delay_alu instid0(VALU_DEP_1) | instskip(NEXT) | instid1(VALU_DEP_1)
	v_lshrrev_b32_e32 v2, 2, v2
	v_mul_lo_u32 v2, v2, 7
	s_delay_alu instid0(VALU_DEP_1) | instskip(NEXT) | instid1(VALU_DEP_1)
	v_sub_nc_u32_e32 v1, v56, v2
	v_mul_u32_u24_e32 v40, 0xdd, v1
	s_delay_alu instid0(VALU_DEP_1)
	v_lshlrev_b32_e32 v76, 3, v40
	s_and_saveexec_b32 s3, vcc_lo
	s_cbranch_execz .LBB0_3
; %bb.2:
	s_load_b64 s[8:9], s[0:1], 0x18
	s_delay_alu instid0(VALU_DEP_1)
	v_lshl_add_u32 v55, v75, 3, v76
	s_wait_kmcnt 0x0
	s_load_b128 s[8:11], s[8:9], 0x0
	s_clause 0x7
	global_load_b64 v[4:5], v74, s[4:5]
	global_load_b64 v[6:7], v74, s[4:5] offset:104
	global_load_b64 v[8:9], v74, s[4:5] offset:208
	;; [unrolled: 1-line block ×7, first 2 shown]
	s_wait_kmcnt 0x0
	v_mad_co_u64_u32 v[0:1], null, s10, v56, 0
	v_mad_co_u64_u32 v[2:3], null, s8, v75, 0
	s_delay_alu instid0(VALU_DEP_1) | instskip(SKIP_1) | instid1(VALU_DEP_1)
	v_mad_co_u64_u32 v[20:21], null, s11, v56, v[1:2]
	v_mad_co_u64_u32 v[21:22], null, s8, v73, 0
	v_dual_mov_b32 v1, v20 :: v_dual_mov_b32 v20, v22
	s_delay_alu instid0(VALU_DEP_1)
	v_lshlrev_b64_e32 v[0:1], 3, v[0:1]
	s_wait_loadcnt 0x7
	v_mad_co_u64_u32 v[23:24], null, s9, v75, v[3:4]
	s_clause 0x6
	global_load_b64 v[24:25], v74, s[4:5] offset:832
	global_load_b64 v[26:27], v74, s[4:5] offset:936
	;; [unrolled: 1-line block ×7, first 2 shown]
	v_mov_b32_e32 v3, v23
	v_mad_co_u64_u32 v[22:23], null, s9, v73, v[20:21]
	v_add_co_u32 v23, s2, s6, v0
	s_delay_alu instid0(VALU_DEP_3) | instskip(SKIP_2) | instid1(VALU_DEP_2)
	v_lshlrev_b64_e32 v[2:3], 3, v[2:3]
	v_add_co_ci_u32_e64 v38, s2, s7, v1, s2
	s_mul_u64 s[8:9], s[8:9], 0x68
	v_add_co_u32 v0, s2, v23, v2
	s_wait_alu 0xf1ff
	s_delay_alu instid0(VALU_DEP_2)
	v_add_co_ci_u32_e64 v1, s2, v38, v3, s2
	v_lshlrev_b64_e32 v[2:3], 3, v[21:22]
	s_wait_alu 0xfffe
	v_add_co_u32 v20, s2, v0, s8
	s_wait_alu 0xf1ff
	v_add_co_ci_u32_e64 v21, s2, s9, v1, s2
	global_load_b64 v[0:1], v[0:1], off
	v_add_co_u32 v2, s2, v23, v2
	s_wait_alu 0xf1ff
	v_add_co_ci_u32_e64 v3, s2, v38, v3, s2
	v_add_co_u32 v22, s2, v20, s8
	s_wait_alu 0xf1ff
	v_add_co_ci_u32_e64 v23, s2, s9, v21, s2
	global_load_b64 v[2:3], v[2:3], off
	v_add_co_u32 v38, s2, v22, s8
	s_wait_alu 0xf1ff
	v_add_co_ci_u32_e64 v39, s2, s9, v23, s2
	s_delay_alu instid0(VALU_DEP_2) | instskip(SKIP_1) | instid1(VALU_DEP_2)
	v_add_co_u32 v41, s2, v38, s8
	s_wait_alu 0xf1ff
	v_add_co_ci_u32_e64 v42, s2, s9, v39, s2
	s_clause 0x2
	global_load_b64 v[20:21], v[20:21], off
	global_load_b64 v[22:23], v[22:23], off
	;; [unrolled: 1-line block ×3, first 2 shown]
	v_add_co_u32 v43, s2, v41, s8
	s_wait_alu 0xf1ff
	v_add_co_ci_u32_e64 v44, s2, s9, v42, s2
	global_load_b64 v[41:42], v[41:42], off
	v_add_co_u32 v45, s2, v43, s8
	s_wait_alu 0xf1ff
	v_add_co_ci_u32_e64 v46, s2, s9, v44, s2
	global_load_b64 v[43:44], v[43:44], off
	;; [unrolled: 4-line block ×11, first 2 shown]
	s_clause 0x1
	global_load_b64 v[67:68], v74, s[4:5] offset:1456
	global_load_b64 v[69:70], v74, s[4:5] offset:1560
	global_load_b64 v[65:66], v[65:66], off
	v_add_nc_u32_e32 v77, v76, v74
	s_wait_loadcnt 0x12
	v_mul_f32_e32 v71, v1, v5
	v_mul_f32_e32 v72, v0, v5
	s_delay_alu instid0(VALU_DEP_2) | instskip(NEXT) | instid1(VALU_DEP_2)
	v_fmac_f32_e32 v71, v0, v4
	v_fma_f32 v72, v1, v4, -v72
	s_wait_loadcnt 0x11
	v_mul_f32_e32 v5, v3, v37
	v_mul_f32_e32 v37, v2, v37
	s_wait_loadcnt 0x10
	s_delay_alu instid0(VALU_DEP_2)
	v_dual_fmac_f32 v5, v2, v36 :: v_dual_mul_f32 v0, v21, v7
	v_mul_f32_e32 v1, v20, v7
	s_wait_loadcnt 0xf
	v_mul_f32_e32 v7, v23, v9
	v_mul_f32_e32 v4, v22, v9
	s_wait_loadcnt 0xe
	v_mul_f32_e32 v2, v38, v11
	v_fmac_f32_e32 v0, v20, v6
	v_fma_f32 v1, v21, v6, -v1
	v_fmac_f32_e32 v7, v22, v8
	v_fma_f32 v8, v23, v8, -v4
	v_mul_f32_e32 v6, v39, v11
	ds_store_b64 v55, v[71:72]
	v_fmac_f32_e32 v6, v38, v10
	s_wait_loadcnt 0xb
	v_mul_f32_e32 v4, v45, v17
	ds_store_2addr_b64 v77, v[0:1], v[7:8] offset0:13 offset1:26
	v_fma_f32 v7, v39, v10, -v2
	v_dual_mul_f32 v1, v41, v13 :: v_dual_mul_f32 v0, v44, v15
	s_wait_loadcnt 0xa
	v_dual_mul_f32 v8, v48, v19 :: v_dual_mul_f32 v9, v42, v13
	v_dual_mul_f32 v2, v43, v15 :: v_dual_mul_f32 v11, v46, v17
	s_delay_alu instid0(VALU_DEP_3) | instskip(NEXT) | instid1(VALU_DEP_3)
	v_fma_f32 v10, v42, v12, -v1
	v_fmac_f32_e32 v8, v47, v18
	s_delay_alu instid0(VALU_DEP_4) | instskip(NEXT) | instid1(VALU_DEP_4)
	v_dual_fmac_f32 v0, v43, v14 :: v_dual_fmac_f32 v9, v41, v12
	v_fma_f32 v1, v44, v14, -v2
	v_dual_mul_f32 v2, v47, v19 :: v_dual_fmac_f32 v11, v45, v16
	v_fma_f32 v12, v46, v16, -v4
	ds_store_2addr_b64 v77, v[6:7], v[9:10] offset0:39 offset1:52
	s_wait_loadcnt 0x9
	v_mul_f32_e32 v10, v50, v25
	v_fma_f32 v9, v48, v18, -v2
	s_wait_loadcnt 0x8
	v_mul_f32_e32 v2, v51, v27
	ds_store_2addr_b64 v77, v[0:1], v[11:12] offset0:65 offset1:78
	v_dual_mul_f32 v1, v49, v25 :: v_dual_mul_f32 v0, v52, v27
	s_wait_loadcnt 0x7
	v_mul_f32_e32 v4, v53, v29
	v_mul_f32_e32 v12, v54, v29
	s_wait_loadcnt 0x6
	v_mul_f32_e32 v14, v58, v31
	v_fma_f32 v11, v50, v24, -v1
	v_fma_f32 v1, v52, v26, -v2
	;; [unrolled: 1-line block ×3, first 2 shown]
	v_mul_f32_e32 v2, v57, v31
	s_wait_loadcnt 0x5
	v_mul_f32_e32 v4, v59, v33
	v_mul_f32_e32 v16, v60, v33
	v_fmac_f32_e32 v10, v49, v24
	v_fmac_f32_e32 v0, v51, v26
	s_wait_loadcnt 0x4
	v_mul_f32_e32 v18, v62, v35
	v_fma_f32 v15, v58, v30, -v2
	v_fma_f32 v17, v60, v32, -v4
	v_mul_f32_e32 v2, v61, v35
	s_wait_loadcnt 0x2
	v_mul_f32_e32 v20, v64, v68
	v_mul_f32_e32 v4, v63, v68
	s_wait_loadcnt 0x0
	v_mul_f32_e32 v22, v66, v70
	v_mul_f32_e32 v6, v65, v70
	v_fmac_f32_e32 v12, v53, v28
	v_fmac_f32_e32 v14, v57, v30
	;; [unrolled: 1-line block ×4, first 2 shown]
	v_fma_f32 v19, v62, v34, -v2
	v_fmac_f32_e32 v20, v63, v67
	v_fma_f32 v21, v64, v67, -v4
	v_fmac_f32_e32 v22, v65, v69
	v_fma_f32 v23, v66, v69, -v6
	v_fma_f32 v6, v3, v36, -v37
	ds_store_2addr_b64 v77, v[8:9], v[10:11] offset0:91 offset1:104
	ds_store_2addr_b64 v77, v[0:1], v[12:13] offset0:117 offset1:130
	;; [unrolled: 1-line block ×5, first 2 shown]
.LBB0_3:
	s_or_b32 exec_lo, exec_lo, s3
	s_clause 0x1
	s_load_b64 s[2:3], s[0:1], 0x20
	s_load_b64 s[6:7], s[0:1], 0x8
	v_mov_b32_e32 v8, 0
	v_mov_b32_e32 v9, 0
	global_wb scope:SCOPE_SE
	s_wait_dscnt 0x0
	s_wait_kmcnt 0x0
	s_barrier_signal -1
	s_barrier_wait -1
	global_inv scope:SCOPE_SE
                                        ; implicit-def: $vgpr26
                                        ; implicit-def: $vgpr20
                                        ; implicit-def: $vgpr16
                                        ; implicit-def: $vgpr12
                                        ; implicit-def: $vgpr4
                                        ; implicit-def: $vgpr30
                                        ; implicit-def: $vgpr34
                                        ; implicit-def: $vgpr38
	s_and_saveexec_b32 s0, vcc_lo
	s_cbranch_execz .LBB0_5
; %bb.4:
	v_lshl_add_u32 v0, v40, 3, v74
	ds_load_2addr_b64 v[8:11], v0 offset1:13
	ds_load_2addr_b64 v[36:39], v0 offset0:26 offset1:39
	ds_load_2addr_b64 v[32:35], v0 offset0:52 offset1:65
	;; [unrolled: 1-line block ×7, first 2 shown]
	ds_load_b64 v[4:5], v0 offset:1664
.LBB0_5:
	s_wait_alu 0xfffe
	s_or_b32 exec_lo, exec_lo, s0
	s_wait_dscnt 0x0
	v_dual_sub_f32 v104, v11, v5 :: v_dual_sub_f32 v109, v10, v4
	v_dual_add_f32 v41, v4, v10 :: v_dual_add_f32 v42, v5, v11
	global_wb scope:SCOPE_SE
	v_dual_mul_f32 v65, 0xbf2c7751, v104 :: v_dual_mul_f32 v66, 0xbf2c7751, v109
	v_dual_mul_f32 v80, 0xbf65296c, v109 :: v_dual_sub_f32 v111, v37, v15
	v_mul_f32_e32 v55, 0xbeb8f4ab, v104
	s_barrier_signal -1
	s_delay_alu instid0(VALU_DEP_3) | instskip(NEXT) | instid1(VALU_DEP_3)
	v_fma_f32 v3, 0x3f3d2fb0, v42, -v66
	v_fma_f32 v7, 0x3ee437d1, v42, -v80
	v_fmamk_f32 v2, v41, 0x3f3d2fb0, v65
	s_barrier_wait -1
	v_mul_f32_e32 v97, 0xbf7ee86f, v109
	global_inv scope:SCOPE_SE
	v_dual_add_f32 v7, v7, v9 :: v_dual_add_f32 v2, v2, v8
	v_add_f32_e32 v3, v3, v9
	v_fma_f32 v44, 0x3dbcf732, v42, -v97
	v_dual_mul_f32 v62, 0xbf2c7751, v111 :: v_dual_sub_f32 v113, v36, v14
	v_mul_f32_e32 v93, 0xbf7ee86f, v104
	s_delay_alu instid0(VALU_DEP_3)
	v_dual_mul_f32 v84, 0xbf4c4adb, v111 :: v_dual_add_f32 v47, v44, v9
	v_add_f32_e32 v44, v15, v37
	v_fmamk_f32 v0, v41, 0x3f6eb680, v55
	v_mul_f32_e32 v61, 0xbeb8f4ab, v109
	v_mul_f32_e32 v70, 0xbf7ee86f, v113
	;; [unrolled: 1-line block ×3, first 2 shown]
	s_delay_alu instid0(VALU_DEP_4) | instskip(NEXT) | instid1(VALU_DEP_4)
	v_dual_mul_f32 v63, 0xbf2c7751, v113 :: v_dual_add_f32 v0, v0, v8
	v_fma_f32 v1, 0x3f6eb680, v42, -v61
	v_mul_f32_e32 v78, 0xbf65296c, v104
	v_fma_f32 v50, 0x3dbcf732, v44, -v70
	v_mul_f32_e32 v89, 0xbf4c4adb, v113
	v_sub_f32_e32 v124, v39, v13
	v_add_f32_e32 v1, v1, v9
	v_fmamk_f32 v6, v41, 0x3ee437d1, v78
	v_fmamk_f32 v43, v41, 0x3dbcf732, v93
	v_add_f32_e32 v3, v50, v3
	v_fma_f32 v50, 0xbf7ba420, v44, -v107
	v_fma_f32 v48, 0x3f3d2fb0, v44, -v63
	v_add_f32_e32 v6, v6, v8
	v_add_f32_e32 v46, v43, v8
	v_add_f32_e32 v43, v14, v36
	s_delay_alu instid0(VALU_DEP_4) | instskip(SKIP_2) | instid1(VALU_DEP_4)
	v_dual_add_f32 v50, v50, v47 :: v_dual_add_f32 v1, v48, v1
	v_mul_f32_e32 v64, 0xbf65296c, v124
	v_dual_mul_f32 v77, 0xbf4c4adb, v124 :: v_dual_sub_f32 v140, v33, v19
	v_fmamk_f32 v45, v43, 0x3f3d2fb0, v62
	v_mul_f32_e32 v69, 0xbf7ee86f, v111
	v_mul_f32_e32 v90, 0x3e3c28d5, v124
	v_sub_f32_e32 v142, v32, v18
	v_mul_f32_e32 v112, 0x3f763a35, v124
	v_dual_add_f32 v0, v45, v0 :: v_dual_fmamk_f32 v45, v43, 0xbf1a4643, v84
	v_fmamk_f32 v49, v43, 0x3dbcf732, v69
	v_mul_f32_e32 v103, 0xbe3c28d5, v111
	v_dual_mul_f32 v68, 0xbf7ee86f, v140 :: v_dual_mul_f32 v71, 0xbf7ee86f, v142
	s_delay_alu instid0(VALU_DEP_4) | instskip(NEXT) | instid1(VALU_DEP_4)
	v_add_f32_e32 v6, v45, v6
	v_add_f32_e32 v2, v49, v2
	;; [unrolled: 1-line block ×3, first 2 shown]
	v_fmamk_f32 v49, v43, 0xbf7ba420, v103
	v_sub_f32_e32 v129, v38, v12
	v_sub_f32_e32 v146, v34, v16
	v_mul_f32_e32 v98, 0x3f763a35, v140
	v_fmamk_f32 v52, v45, 0xbf7ba420, v90
	v_add_f32_e32 v49, v49, v46
	v_add_f32_e32 v46, v13, v39
	v_fma_f32 v48, 0xbf1a4643, v44, -v89
	v_dual_mul_f32 v141, 0xbf65296c, v146 :: v_dual_sub_f32 v154, v31, v21
	v_dual_add_f32 v6, v52, v6 :: v_dual_mul_f32 v83, 0xbe3c28d5, v140
	s_delay_alu instid0(VALU_DEP_3) | instskip(SKIP_1) | instid1(VALU_DEP_4)
	v_dual_add_f32 v7, v48, v7 :: v_dual_fmamk_f32 v48, v45, 0x3ee437d1, v64
	v_mul_f32_e32 v81, 0xbf763a35, v146
	v_dual_mul_f32 v125, 0xbf7ee86f, v154 :: v_dual_sub_f32 v156, v25, v27
	v_mul_f32_e32 v108, 0x3f2c7751, v146
	s_delay_alu instid0(VALU_DEP_4) | instskip(SKIP_4) | instid1(VALU_DEP_4)
	v_add_f32_e32 v0, v48, v0
	v_fmamk_f32 v48, v45, 0xbf1a4643, v77
	v_mul_f32_e32 v67, 0xbf65296c, v129
	v_mul_f32_e32 v92, 0x3e3c28d5, v129
	;; [unrolled: 1-line block ×3, first 2 shown]
	v_dual_mul_f32 v119, 0x3f763a35, v129 :: v_dual_add_f32 v2, v48, v2
	s_delay_alu instid0(VALU_DEP_4) | instskip(SKIP_1) | instid1(VALU_DEP_4)
	v_fma_f32 v47, 0x3ee437d1, v46, -v67
	v_add_f32_e32 v48, v19, v33
	v_fma_f32 v51, 0xbf1a4643, v46, -v79
	s_delay_alu instid0(VALU_DEP_4) | instskip(SKIP_3) | instid1(VALU_DEP_4)
	v_fma_f32 v52, 0xbe8c1d8e, v46, -v119
	v_sub_f32_e32 v157, v24, v26
	v_add_f32_e32 v1, v47, v1
	v_fma_f32 v47, 0xbf7ba420, v46, -v92
	v_dual_add_f32 v3, v51, v3 :: v_dual_add_f32 v52, v52, v50
	v_mul_f32_e32 v100, 0x3f763a35, v142
	v_dual_mul_f32 v110, 0x3eb8f4ab, v156 :: v_dual_mul_f32 v115, 0x3eb8f4ab, v157
	s_delay_alu instid0(VALU_DEP_4) | instskip(SKIP_3) | instid1(VALU_DEP_3)
	v_add_f32_e32 v7, v47, v7
	v_add_f32_e32 v47, v18, v32
	v_dual_mul_f32 v134, 0xbf06c442, v156 :: v_dual_mul_f32 v143, 0xbf06c442, v157
	v_dual_mul_f32 v152, 0x3f2c7751, v156 :: v_dual_mul_f32 v153, 0x3f2c7751, v157
	v_fmamk_f32 v50, v47, 0xbf7ba420, v83
	v_fmamk_f32 v51, v45, 0xbe8c1d8e, v112
	s_delay_alu instid0(VALU_DEP_2) | instskip(NEXT) | instid1(VALU_DEP_2)
	v_dual_fmamk_f32 v53, v47, 0x3dbcf732, v68 :: v_dual_add_f32 v2, v50, v2
	v_add_f32_e32 v51, v51, v49
	v_fma_f32 v50, 0xbe8c1d8e, v48, -v100
	v_mul_f32_e32 v123, 0x3eb8f4ab, v140
	s_delay_alu instid0(VALU_DEP_4) | instskip(NEXT) | instid1(VALU_DEP_2)
	v_dual_add_f32 v0, v53, v0 :: v_dual_fmamk_f32 v53, v47, 0xbe8c1d8e, v98
	v_dual_add_f32 v7, v50, v7 :: v_dual_fmamk_f32 v50, v47, 0x3f6eb680, v123
	s_delay_alu instid0(VALU_DEP_1) | instskip(SKIP_2) | instid1(VALU_DEP_2)
	v_dual_add_f32 v6, v53, v6 :: v_dual_add_f32 v53, v50, v51
	v_dual_mul_f32 v133, 0x3eb8f4ab, v142 :: v_dual_add_f32 v50, v17, v35
	v_fma_f32 v49, 0x3dbcf732, v48, -v71
	v_fma_f32 v51, 0x3f6eb680, v48, -v133
	v_mul_f32_e32 v85, 0xbe3c28d5, v142
	s_delay_alu instid0(VALU_DEP_2) | instskip(NEXT) | instid1(VALU_DEP_2)
	v_dual_add_f32 v1, v49, v1 :: v_dual_add_f32 v52, v51, v52
	v_fma_f32 v49, 0xbf7ba420, v48, -v85
	s_delay_alu instid0(VALU_DEP_1) | instskip(SKIP_2) | instid1(VALU_DEP_1)
	v_add_f32_e32 v3, v49, v3
	v_add_f32_e32 v49, v16, v34
	v_sub_f32_e32 v145, v35, v17
	v_mul_f32_e32 v72, 0xbf763a35, v145
	s_delay_alu instid0(VALU_DEP_1) | instskip(SKIP_1) | instid1(VALU_DEP_2)
	v_fmamk_f32 v54, v49, 0xbe8c1d8e, v72
	v_mul_f32_e32 v88, 0x3f06c442, v145
	v_dual_mul_f32 v105, 0x3f2c7751, v145 :: v_dual_add_f32 v0, v54, v0
	v_mul_f32_e32 v91, 0x3f06c442, v146
	s_delay_alu instid0(VALU_DEP_1) | instskip(NEXT) | instid1(VALU_DEP_1)
	v_fma_f32 v57, 0xbf59a7d5, v50, -v91
	v_add_f32_e32 v3, v57, v3
	v_fma_f32 v57, 0x3ee437d1, v50, -v141
	s_delay_alu instid0(VALU_DEP_1) | instskip(SKIP_1) | instid1(VALU_DEP_1)
	v_dual_add_f32 v57, v57, v52 :: v_dual_add_f32 v52, v23, v29
	v_fma_f32 v51, 0xbe8c1d8e, v50, -v81
	v_dual_fmamk_f32 v54, v49, 0xbf59a7d5, v88 :: v_dual_add_f32 v1, v51, v1
	s_delay_alu instid0(VALU_DEP_1) | instskip(SKIP_1) | instid1(VALU_DEP_2)
	v_dual_add_f32 v2, v54, v2 :: v_dual_fmamk_f32 v51, v49, 0x3f3d2fb0, v105
	v_fma_f32 v54, 0x3f3d2fb0, v50, -v108
	v_dual_add_f32 v6, v51, v6 :: v_dual_add_f32 v51, v22, v28
	v_sub_f32_e32 v149, v29, v23
	s_delay_alu instid0(VALU_DEP_1) | instskip(SKIP_1) | instid1(VALU_DEP_2)
	v_dual_sub_f32 v151, v28, v22 :: v_dual_mul_f32 v96, 0x3f763a35, v149
	v_mul_f32_e32 v114, 0xbeb8f4ab, v149
	v_mul_f32_e32 v86, 0xbf4c4adb, v151
	;; [unrolled: 1-line block ×4, first 2 shown]
	s_delay_alu instid0(VALU_DEP_4) | instskip(SKIP_1) | instid1(VALU_DEP_4)
	v_fmamk_f32 v60, v51, 0x3f6eb680, v114
	v_mul_f32_e32 v137, 0xbf65296c, v145
	v_fma_f32 v95, 0xbf59a7d5, v52, -v147
	s_delay_alu instid0(VALU_DEP_3) | instskip(NEXT) | instid1(VALU_DEP_3)
	v_dual_add_f32 v6, v60, v6 :: v_dual_add_f32 v7, v54, v7
	v_fmamk_f32 v54, v49, 0x3ee437d1, v137
	s_delay_alu instid0(VALU_DEP_3) | instskip(NEXT) | instid1(VALU_DEP_2)
	v_add_f32_e32 v116, v95, v57
	v_add_f32_e32 v58, v54, v53
	v_fmamk_f32 v54, v51, 0xbe8c1d8e, v96
	v_mul_f32_e32 v82, 0xbf4c4adb, v149
	v_dual_mul_f32 v144, 0xbf06c442, v149 :: v_dual_sub_f32 v155, v30, v20
	s_delay_alu instid0(VALU_DEP_2) | instskip(SKIP_1) | instid1(VALU_DEP_3)
	v_dual_add_f32 v2, v54, v2 :: v_dual_fmamk_f32 v53, v51, 0xbf1a4643, v82
	v_add_f32_e32 v54, v21, v31
	v_fmamk_f32 v60, v51, 0xbf59a7d5, v144
	v_mul_f32_e32 v99, 0x3f763a35, v151
	v_dual_mul_f32 v87, 0xbf06c442, v154 :: v_dual_mul_f32 v94, 0xbf06c442, v155
	v_add_f32_e32 v0, v53, v0
	v_fma_f32 v53, 0xbf1a4643, v52, -v86
	v_add_f32_e32 v58, v60, v58
	v_fma_f32 v59, 0xbe8c1d8e, v52, -v99
	v_mul_f32_e32 v106, 0x3f65296c, v155
	v_fma_f32 v57, 0xbf59a7d5, v54, -v94
	v_add_f32_e32 v1, v53, v1
	v_add_f32_e32 v53, v20, v30
	;; [unrolled: 1-line block ×3, first 2 shown]
	v_fma_f32 v59, 0x3f6eb680, v52, -v122
	s_delay_alu instid0(VALU_DEP_4) | instskip(NEXT) | instid1(VALU_DEP_4)
	v_dual_mul_f32 v102, 0x3f65296c, v154 :: v_dual_add_f32 v1, v57, v1
	v_fmamk_f32 v101, v53, 0xbf59a7d5, v87
	s_delay_alu instid0(VALU_DEP_3) | instskip(SKIP_2) | instid1(VALU_DEP_2)
	v_add_f32_e32 v7, v59, v7
	v_fma_f32 v59, 0x3ee437d1, v54, -v106
	v_fmamk_f32 v60, v53, 0x3dbcf732, v125
	v_dual_add_f32 v0, v101, v0 :: v_dual_add_f32 v3, v59, v3
	s_delay_alu instid0(VALU_DEP_2) | instskip(SKIP_1) | instid1(VALU_DEP_2)
	v_dual_fmamk_f32 v57, v53, 0x3ee437d1, v102 :: v_dual_add_f32 v6, v60, v6
	v_dual_mul_f32 v135, 0xbf7ee86f, v155 :: v_dual_add_f32 v60, v27, v25
	v_dual_add_f32 v2, v57, v2 :: v_dual_add_f32 v59, v26, v24
	s_delay_alu instid0(VALU_DEP_2) | instskip(SKIP_1) | instid1(VALU_DEP_4)
	v_fma_f32 v95, 0x3dbcf732, v54, -v135
	v_mul_f32_e32 v148, 0x3f4c4adb, v154
	v_fma_f32 v121, 0x3f6eb680, v60, -v115
	s_delay_alu instid0(VALU_DEP_4) | instskip(NEXT) | instid1(VALU_DEP_4)
	v_fmamk_f32 v120, v59, 0x3f6eb680, v110
	v_add_f32_e32 v7, v95, v7
	s_delay_alu instid0(VALU_DEP_4) | instskip(SKIP_1) | instid1(VALU_DEP_4)
	v_fmamk_f32 v57, v53, 0xbf1a4643, v148
	v_mul_f32_e32 v150, 0x3f4c4adb, v155
	v_dual_add_f32 v3, v121, v3 :: v_dual_add_f32 v2, v120, v2
	v_fma_f32 v120, 0x3f3d2fb0, v60, -v153
	s_delay_alu instid0(VALU_DEP_4) | instskip(NEXT) | instid1(VALU_DEP_4)
	v_add_f32_e32 v117, v57, v58
	v_fma_f32 v118, 0xbf1a4643, v54, -v150
	s_delay_alu instid0(VALU_DEP_1) | instskip(NEXT) | instid1(VALU_DEP_1)
	v_dual_mul_f32 v101, 0xbe3c28d5, v157 :: v_dual_add_f32 v116, v118, v116
	v_fma_f32 v58, 0xbf7ba420, v60, -v101
	s_delay_alu instid0(VALU_DEP_1) | instskip(NEXT) | instid1(VALU_DEP_1)
	v_dual_mul_f32 v95, 0xbe3c28d5, v156 :: v_dual_add_f32 v58, v58, v1
	v_fmamk_f32 v57, v59, 0xbf7ba420, v95
	v_fma_f32 v1, 0xbf59a7d5, v60, -v143
	s_delay_alu instid0(VALU_DEP_2) | instskip(NEXT) | instid1(VALU_DEP_2)
	v_dual_fmamk_f32 v118, v59, 0x3f3d2fb0, v152 :: v_dual_add_f32 v57, v57, v0
	v_dual_add_f32 v1, v1, v7 :: v_dual_fmamk_f32 v0, v59, 0xbf59a7d5, v134
	v_add_f32_e32 v7, v120, v116
	s_delay_alu instid0(VALU_DEP_2) | instskip(NEXT) | instid1(VALU_DEP_4)
	v_add_f32_e32 v0, v0, v6
	v_add_f32_e32 v6, v118, v117
	s_and_saveexec_b32 s0, vcc_lo
	s_cbranch_execz .LBB0_7
; %bb.6:
	v_dual_mul_f32 v132, 0xbe3c28d5, v109 :: v_dual_mul_f32 v127, 0xbe3c28d5, v104
	v_dual_mul_f32 v131, 0x3eb8f4ab, v113 :: v_dual_mul_f32 v126, 0x3eb8f4ab, v111
	;; [unrolled: 1-line block ×3, first 2 shown]
	s_delay_alu instid0(VALU_DEP_3) | instskip(SKIP_3) | instid1(VALU_DEP_4)
	v_fma_f32 v117, 0xbf7ba420, v41, -v127
	v_mul_f32_e32 v130, 0xbf06c442, v129
	v_dual_fmamk_f32 v116, v42, 0xbf7ba420, v132 :: v_dual_add_f32 v11, v11, v9
	v_fma_f32 v138, 0x3f6eb680, v43, -v126
	v_dual_add_f32 v117, v117, v8 :: v_dual_mul_f32 v128, 0xbf4c4adb, v146
	s_delay_alu instid0(VALU_DEP_3) | instskip(NEXT) | instid1(VALU_DEP_2)
	v_dual_add_f32 v116, v116, v9 :: v_dual_fmamk_f32 v139, v46, 0xbf59a7d5, v130
	v_dual_fmamk_f32 v118, v44, 0x3f6eb680, v131 :: v_dual_add_f32 v117, v138, v117
	v_mul_f32_e32 v120, 0xbf06c442, v124
	v_fma_f32 v158, 0x3f3d2fb0, v47, -v121
	v_mul_f32_e32 v164, 0xbf06c442, v140
	s_delay_alu instid0(VALU_DEP_4) | instskip(SKIP_2) | instid1(VALU_DEP_4)
	v_add_f32_e32 v116, v118, v116
	v_dual_add_f32 v10, v10, v8 :: v_dual_mul_f32 v185, 0x3f65296c, v113
	v_fma_f32 v118, 0xbf59a7d5, v45, -v120
	v_fma_f32 v163, 0xbf59a7d5, v47, -v164
	s_delay_alu instid0(VALU_DEP_4) | instskip(SKIP_1) | instid1(VALU_DEP_4)
	v_add_f32_e32 v139, v139, v116
	v_dual_add_f32 v11, v37, v11 :: v_dual_mul_f32 v176, 0xbf06c442, v109
	v_dual_add_f32 v117, v118, v117 :: v_dual_fmamk_f32 v138, v48, 0x3f3d2fb0, v136
	v_mul_f32_e32 v118, 0x3f65296c, v149
	v_dual_add_f32 v10, v36, v10 :: v_dual_mul_f32 v171, 0xbf06c442, v104
	s_delay_alu instid0(VALU_DEP_3) | instskip(NEXT) | instid1(VALU_DEP_4)
	v_add_f32_e32 v117, v158, v117
	v_dual_mul_f32 v116, 0xbf4c4adb, v145 :: v_dual_add_f32 v139, v138, v139
	v_mul_f32_e32 v138, 0x3f65296c, v151
	v_fma_f32 v161, 0x3ee437d1, v51, -v118
	v_dual_mul_f32 v166, 0x3f7ee86f, v157 :: v_dual_add_f32 v197, v38, v10
	s_delay_alu instid0(VALU_DEP_4) | instskip(SKIP_3) | instid1(VALU_DEP_4)
	v_fma_f32 v160, 0xbf1a4643, v49, -v116
	v_dual_fmamk_f32 v159, v50, 0xbf1a4643, v128 :: v_dual_add_f32 v196, v39, v11
	v_mul_f32_e32 v177, 0xbf7ee86f, v129
	v_dual_mul_f32 v178, 0x3f4c4adb, v142 :: v_dual_mul_f32 v165, 0x3f4c4adb, v140
	v_add_f32_e32 v160, v160, v117
	s_delay_alu instid0(VALU_DEP_4) | instskip(SKIP_1) | instid1(VALU_DEP_3)
	v_dual_add_f32 v158, v159, v139 :: v_dual_mul_f32 v117, 0xbf763a35, v154
	v_fmamk_f32 v159, v52, 0x3ee437d1, v138
	v_dual_mul_f32 v139, 0xbf763a35, v155 :: v_dual_add_f32 v160, v161, v160
	v_fmamk_f32 v37, v42, 0xbf59a7d5, v176
	s_delay_alu instid0(VALU_DEP_4) | instskip(NEXT) | instid1(VALU_DEP_3)
	v_fma_f32 v161, 0xbe8c1d8e, v53, -v117
	v_dual_add_f32 v158, v159, v158 :: v_dual_fmamk_f32 v159, v54, 0xbe8c1d8e, v139
	s_delay_alu instid0(VALU_DEP_3) | instskip(NEXT) | instid1(VALU_DEP_3)
	v_dual_fmamk_f32 v36, v60, 0x3dbcf732, v166 :: v_dual_add_f32 v37, v37, v9
	v_dual_add_f32 v160, v161, v160 :: v_dual_mul_f32 v183, 0xbf4c4adb, v109
	s_delay_alu instid0(VALU_DEP_3) | instskip(SKIP_1) | instid1(VALU_DEP_2)
	v_dual_add_f32 v159, v159, v158 :: v_dual_mul_f32 v158, 0x3f7ee86f, v156
	v_dual_mul_f32 v168, 0xbe3c28d5, v149 :: v_dual_mul_f32 v169, 0xbe3c28d5, v155
	v_dual_mul_f32 v184, 0x3f763a35, v113 :: v_dual_add_f32 v11, v36, v159
	s_delay_alu instid0(VALU_DEP_3) | instskip(SKIP_3) | instid1(VALU_DEP_4)
	v_fma_f32 v10, 0x3dbcf732, v59, -v158
	v_mul_f32_e32 v175, 0xbf763a35, v157
	v_fma_f32 v36, 0xbf59a7d5, v41, -v171
	v_mul_f32_e32 v182, 0x3f763a35, v111
	v_dual_mul_f32 v195, 0x3f2c7751, v129 :: v_dual_add_f32 v10, v10, v160
	s_delay_alu instid0(VALU_DEP_4)
	v_fmamk_f32 v159, v60, 0xbe8c1d8e, v175
	v_fmamk_f32 v38, v44, 0x3ee437d1, v185
	v_mul_f32_e32 v172, 0x3f65296c, v111
	v_fma_f32 v162, 0xbe8c1d8e, v43, -v182
	v_mul_f32_e32 v170, 0xbeb8f4ab, v124
	v_fmamk_f32 v192, v54, 0xbf7ba420, v169
	v_add_f32_e32 v37, v38, v37
	v_fma_f32 v39, 0x3ee437d1, v43, -v172
	v_fmamk_f32 v38, v46, 0x3dbcf732, v177
	v_dual_add_f32 v36, v36, v8 :: v_dual_mul_f32 v179, 0xbeb8f4ab, v146
	v_mul_f32_e32 v188, 0xbf2c7751, v151
	v_dual_mul_f32 v190, 0xbf763a35, v156 :: v_dual_mul_f32 v193, 0xbf763a35, v109
	s_delay_alu instid0(VALU_DEP_3) | instskip(SKIP_2) | instid1(VALU_DEP_4)
	v_dual_add_f32 v37, v38, v37 :: v_dual_add_f32 v36, v39, v36
	v_fmamk_f32 v38, v48, 0xbf1a4643, v178
	v_mul_f32_e32 v180, 0xbe3c28d5, v151
	v_fma_f32 v194, 0xbe8c1d8e, v59, -v190
	v_dual_add_f32 v33, v33, v196 :: v_dual_fmac_f32 v118, 0x3ee437d1, v51
	s_delay_alu instid0(VALU_DEP_4) | instskip(SKIP_2) | instid1(VALU_DEP_4)
	v_add_f32_e32 v37, v38, v37
	v_fmamk_f32 v38, v50, 0x3f6eb680, v179
	v_fmac_f32_e32 v117, 0xbe8c1d8e, v53
	v_dual_add_f32 v33, v35, v33 :: v_dual_fmac_f32 v158, 0x3dbcf732, v59
	v_fmac_f32_e32 v121, 0x3f3d2fb0, v47
	s_delay_alu instid0(VALU_DEP_4) | instskip(NEXT) | instid1(VALU_DEP_3)
	v_dual_add_f32 v37, v38, v37 :: v_dual_fmamk_f32 v38, v52, 0xbf7ba420, v180
	v_dual_mul_f32 v174, 0x3f2c7751, v155 :: v_dual_add_f32 v29, v29, v33
	v_mul_f32_e32 v167, 0xbeb8f4ab, v145
	v_mul_f32_e32 v161, 0x3f2c7751, v154
	s_delay_alu instid0(VALU_DEP_4) | instskip(NEXT) | instid1(VALU_DEP_4)
	v_add_f32_e32 v37, v38, v37
	v_dual_fmamk_f32 v38, v54, 0x3f3d2fb0, v174 :: v_dual_add_f32 v29, v31, v29
	v_fmac_f32_e32 v190, 0xbe8c1d8e, v59
	v_fmac_f32_e32 v116, 0xbf1a4643, v49
	v_add_f32_e32 v32, v32, v197
	s_delay_alu instid0(VALU_DEP_4) | instskip(SKIP_4) | instid1(VALU_DEP_4)
	v_add_f32_e32 v37, v38, v37
	v_fmamk_f32 v38, v42, 0xbf1a4643, v183
	v_mul_f32_e32 v173, 0xbf7ee86f, v124
	v_dual_mul_f32 v124, 0x3f2c7751, v124 :: v_dual_add_f32 v25, v25, v29
	v_add_f32_e32 v32, v34, v32
	v_add_f32_e32 v38, v38, v9
	s_delay_alu instid0(VALU_DEP_4) | instskip(NEXT) | instid1(VALU_DEP_4)
	v_fma_f32 v39, 0x3dbcf732, v45, -v173
	v_dual_fmac_f32 v126, 0x3f6eb680, v43 :: v_dual_add_f32 v25, v27, v25
	v_fmac_f32_e32 v120, 0xbf59a7d5, v45
	v_add_f32_e32 v28, v28, v32
	s_delay_alu instid0(VALU_DEP_4) | instskip(SKIP_2) | instid1(VALU_DEP_4)
	v_add_f32_e32 v36, v39, v36
	v_fma_f32 v39, 0xbf1a4643, v47, -v165
	v_dual_add_f32 v21, v21, v25 :: v_dual_fmac_f32 v172, 0x3ee437d1, v43
	v_add_f32_e32 v28, v30, v28
	s_delay_alu instid0(VALU_DEP_3) | instskip(SKIP_1) | instid1(VALU_DEP_4)
	v_add_f32_e32 v36, v39, v36
	v_fma_f32 v39, 0x3f6eb680, v49, -v167
	v_add_f32_e32 v21, v23, v21
	s_delay_alu instid0(VALU_DEP_4) | instskip(NEXT) | instid1(VALU_DEP_3)
	v_add_f32_e32 v27, v24, v28
	v_add_f32_e32 v36, v39, v36
	v_fma_f32 v39, 0xbf7ba420, v51, -v168
	s_delay_alu instid0(VALU_DEP_4) | instskip(NEXT) | instid1(VALU_DEP_4)
	v_dual_add_f32 v17, v17, v21 :: v_dual_fmac_f32 v168, 0xbf7ba420, v51
	v_add_f32_e32 v25, v26, v27
	v_fma_f32 v26, 0xbf7ba420, v42, -v132
	s_delay_alu instid0(VALU_DEP_4)
	v_add_f32_e32 v36, v39, v36
	v_fma_f32 v39, 0x3f3d2fb0, v53, -v161
	v_add_f32_e32 v17, v19, v17
	v_add_f32_e32 v20, v20, v25
	;; [unrolled: 1-line block ×3, first 2 shown]
	v_fma_f32 v25, 0x3f6eb680, v44, -v131
	v_dual_add_f32 v36, v39, v36 :: v_dual_fmamk_f32 v39, v44, 0xbe8c1d8e, v184
	v_mul_f32_e32 v181, 0xbf4c4adb, v104
	v_add_f32_e32 v20, v22, v20
	v_fma_f32 v22, 0xbf59a7d5, v46, -v130
	s_delay_alu instid0(VALU_DEP_4)
	v_add_f32_e32 v36, v194, v36
	v_add_f32_e32 v38, v39, v38
	v_fma_f32 v160, 0xbf1a4643, v41, -v181
	v_mul_f32_e32 v189, 0xbeb8f4ab, v129
	v_mul_f32_e32 v129, 0xbf65296c, v140
	;; [unrolled: 1-line block ×4, first 2 shown]
	s_delay_alu instid0(VALU_DEP_4) | instskip(SKIP_1) | instid1(VALU_DEP_4)
	v_dual_add_f32 v160, v160, v8 :: v_dual_fmamk_f32 v39, v46, 0x3f6eb680, v189
	v_add_f32_e32 v16, v16, v20
	v_fma_f32 v199, 0xbf7ba420, v49, -v140
	v_mul_f32_e32 v186, 0xbf06c442, v142
	s_delay_alu instid0(VALU_DEP_4)
	v_add_f32_e32 v160, v162, v160
	v_add_f32_e32 v38, v39, v38
	v_fma_f32 v162, 0x3f6eb680, v45, -v170
	v_mul_f32_e32 v187, 0x3f7ee86f, v146
	v_fmamk_f32 v39, v48, 0xbf59a7d5, v186
	v_dual_add_f32 v37, v159, v37 :: v_dual_mul_f32 v142, 0xbf65296c, v142
	s_delay_alu instid0(VALU_DEP_4) | instskip(SKIP_1) | instid1(VALU_DEP_4)
	v_add_f32_e32 v160, v162, v160
	v_dual_mul_f32 v162, 0x3f7ee86f, v145 :: v_dual_mul_f32 v145, 0x3f7ee86f, v151
	v_dual_add_f32 v38, v39, v38 :: v_dual_fmamk_f32 v39, v50, 0x3dbcf732, v187
	s_delay_alu instid0(VALU_DEP_3) | instskip(NEXT) | instid1(VALU_DEP_3)
	v_add_f32_e32 v159, v163, v160
	v_fma_f32 v163, 0x3dbcf732, v49, -v162
	v_mul_f32_e32 v160, 0xbf2c7751, v149
	v_mul_f32_e32 v146, 0xbe3c28d5, v146
	v_dual_add_f32 v38, v39, v38 :: v_dual_fmamk_f32 v39, v52, 0x3f3d2fb0, v188
	v_fma_f32 v20, 0x3f3d2fb0, v48, -v136
	s_delay_alu instid0(VALU_DEP_4)
	v_fma_f32 v191, 0x3f3d2fb0, v51, -v160
	v_add_f32_e32 v16, v18, v16
	v_fma_f32 v18, 0xbf1a4643, v50, -v128
	v_add_f32_e32 v38, v39, v38
	v_add_f32_e32 v39, v163, v159
	v_mul_f32_e32 v163, 0x3f65296c, v157
	v_dual_mul_f32 v159, 0xbe3c28d5, v154 :: v_dual_add_f32 v12, v12, v16
	s_delay_alu instid0(VALU_DEP_3) | instskip(NEXT) | instid1(VALU_DEP_3)
	v_dual_add_f32 v38, v192, v38 :: v_dual_add_f32 v39, v191, v39
	v_fmamk_f32 v192, v60, 0x3ee437d1, v163
	s_delay_alu instid0(VALU_DEP_3) | instskip(NEXT) | instid1(VALU_DEP_4)
	v_fma_f32 v191, 0xbf7ba420, v53, -v159
	v_dual_fmac_f32 v159, 0xbf7ba420, v53 :: v_dual_add_f32 v12, v14, v12
	v_fmac_f32_e32 v162, 0x3dbcf732, v49
	s_delay_alu instid0(VALU_DEP_3) | instskip(SKIP_3) | instid1(VALU_DEP_4)
	v_dual_add_f32 v198, v191, v39 :: v_dual_mul_f32 v191, 0xbf763a35, v104
	v_dual_add_f32 v39, v192, v38 :: v_dual_fmamk_f32 v38, v42, 0xbe8c1d8e, v193
	v_mul_f32_e32 v192, 0x3f06c442, v111
	v_fmamk_f32 v111, v44, 0xbf59a7d5, v194
	v_fma_f32 v109, 0xbe8c1d8e, v41, -v191
	v_mul_f32_e32 v104, 0x3f65296c, v156
	v_add_f32_e32 v38, v38, v9
	v_fma_f32 v113, 0xbf59a7d5, v43, -v192
	v_add_f32_e32 v4, v4, v12
	s_delay_alu instid0(VALU_DEP_3) | instskip(SKIP_1) | instid1(VALU_DEP_2)
	v_dual_add_f32 v109, v109, v8 :: v_dual_add_f32 v38, v111, v38
	v_fmamk_f32 v111, v46, 0x3f3d2fb0, v195
	v_add_f32_e32 v109, v113, v109
	v_fma_f32 v113, 0x3f3d2fb0, v45, -v124
	v_fmac_f32_e32 v124, 0x3f3d2fb0, v45
	s_delay_alu instid0(VALU_DEP_2) | instskip(SKIP_3) | instid1(VALU_DEP_3)
	v_dual_add_f32 v38, v111, v38 :: v_dual_add_f32 v109, v113, v109
	v_fma_f32 v113, 0x3ee437d1, v47, -v129
	v_fmac_f32_e32 v129, 0x3ee437d1, v47
	v_fmac_f32_e32 v181, 0xbf1a4643, v41
	v_add_f32_e32 v151, v113, v109
	v_mul_f32_e32 v113, 0xbeb8f4ab, v155
	v_dual_add_f32 v13, v13, v17 :: v_dual_fmac_f32 v182, 0xbe8c1d8e, v43
	s_delay_alu instid0(VALU_DEP_3) | instskip(SKIP_2) | instid1(VALU_DEP_4)
	v_dual_fmac_f32 v170, 0x3f6eb680, v45 :: v_dual_add_f32 v151, v199, v151
	v_fma_f32 v199, 0x3ee437d1, v59, -v104
	v_fmamk_f32 v111, v48, 0x3ee437d1, v142
	v_add_f32_e32 v13, v15, v13
	s_delay_alu instid0(VALU_DEP_2) | instskip(SKIP_1) | instid1(VALU_DEP_2)
	v_dual_add_f32 v38, v111, v38 :: v_dual_fmamk_f32 v111, v50, 0xbf7ba420, v146
	v_mul_f32_e32 v109, 0x3f7ee86f, v149
	v_dual_add_f32 v5, v5, v13 :: v_dual_add_f32 v38, v111, v38
	s_delay_alu instid0(VALU_DEP_2)
	v_fma_f32 v155, 0x3dbcf732, v51, -v109
	v_mul_f32_e32 v111, 0xbeb8f4ab, v154
	v_fmamk_f32 v154, v54, 0x3f6eb680, v113
	v_fmac_f32_e32 v109, 0x3dbcf732, v51
	v_fmac_f32_e32 v191, 0xbe8c1d8e, v41
	v_add_f32_e32 v151, v155, v151
	v_mul_f32_e32 v155, 0x3dbcf732, v42
	v_fmamk_f32 v149, v52, 0x3dbcf732, v145
	v_dual_fmac_f32 v161, 0x3f3d2fb0, v53 :: v_dual_fmac_f32 v160, 0x3f3d2fb0, v51
	v_fmac_f32_e32 v167, 0x3f6eb680, v49
	v_add_f32_e32 v21, v25, v23
	s_delay_alu instid0(VALU_DEP_4) | instskip(SKIP_2) | instid1(VALU_DEP_4)
	v_add_f32_e32 v149, v149, v38
	v_add_f32_e32 v38, v199, v198
	v_dual_mul_f32 v198, 0xbf7ba420, v44 :: v_dual_fmac_f32 v127, 0xbf7ba420, v41
	v_add_f32_e32 v19, v22, v21
	s_delay_alu instid0(VALU_DEP_4) | instskip(NEXT) | instid1(VALU_DEP_3)
	v_dual_add_f32 v149, v154, v149 :: v_dual_add_f32 v154, v97, v155
	v_add_f32_e32 v155, v107, v198
	v_mul_f32_e32 v107, 0xbf4c4adb, v156
	v_mul_f32_e32 v156, 0xbf7ba420, v43
	s_delay_alu instid0(VALU_DEP_4) | instskip(SKIP_2) | instid1(VALU_DEP_4)
	v_dual_add_f32 v17, v20, v19 :: v_dual_add_f32 v154, v154, v9
	v_mul_f32_e32 v97, 0xbf4c4adb, v157
	v_mul_f32_e32 v157, 0x3dbcf732, v41
	v_dual_sub_f32 v103, v156, v103 :: v_dual_mul_f32 v156, 0xbe8c1d8e, v45
	v_mul_f32_e32 v198, 0xbe8c1d8e, v46
	s_delay_alu instid0(VALU_DEP_3)
	v_dual_add_f32 v154, v155, v154 :: v_dual_sub_f32 v93, v157, v93
	v_mul_f32_e32 v155, 0x3f6eb680, v48
	v_fma_f32 v200, 0x3f6eb680, v53, -v111
	v_add_f32_e32 v16, v18, v17
	v_fma_f32 v17, 0x3ee437d1, v52, -v138
	v_add_f32_e32 v93, v93, v8
	v_add_f32_e32 v133, v133, v155
	;; [unrolled: 1-line block ×6, first 2 shown]
	v_sub_f32_e32 v103, v156, v112
	v_dual_add_f32 v119, v119, v198 :: v_dual_add_f32 v14, v17, v16
	v_fma_f32 v16, 0xbf59a7d5, v42, -v176
	v_fma_f32 v20, 0x3dbcf732, v50, -v187
	s_delay_alu instid0(VALU_DEP_4) | instskip(NEXT) | instid1(VALU_DEP_4)
	v_add_f32_e32 v93, v103, v93
	v_add_f32_e32 v119, v119, v154
	v_dual_mul_f32 v154, 0x3ee437d1, v50 :: v_dual_add_f32 v13, v126, v15
	v_fma_f32 v15, 0xbe8c1d8e, v54, -v139
	v_fmac_f32_e32 v164, 0xbf59a7d5, v47
	s_delay_alu instid0(VALU_DEP_4) | instskip(NEXT) | instid1(VALU_DEP_4)
	v_add_f32_e32 v119, v133, v119
	v_add_f32_e32 v133, v141, v154
	v_mul_f32_e32 v141, 0xbf59a7d5, v52
	v_dual_mul_f32 v112, 0x3f6eb680, v47 :: v_dual_add_f32 v13, v120, v13
	s_delay_alu instid0(VALU_DEP_3) | instskip(NEXT) | instid1(VALU_DEP_3)
	v_dual_add_f32 v12, v15, v14 :: v_dual_add_f32 v119, v133, v119
	v_add_f32_e32 v133, v147, v141
	s_delay_alu instid0(VALU_DEP_3)
	v_sub_f32_e32 v103, v112, v123
	v_mul_f32_e32 v123, 0x3ee437d1, v49
	v_fmamk_f32 v112, v60, 0xbf1a4643, v97
	v_add_f32_e32 v14, v16, v9
	v_fma_f32 v15, 0x3ee437d1, v44, -v185
	v_add_f32_e32 v93, v103, v93
	v_sub_f32_e32 v123, v123, v137
	v_mul_f32_e32 v137, 0xbf59a7d5, v51
	v_add_f32_e32 v13, v121, v13
	v_dual_fmac_f32 v171, 0xbf59a7d5, v41 :: v_dual_add_f32 v14, v15, v14
	s_delay_alu instid0(VALU_DEP_4) | instskip(NEXT) | instid1(VALU_DEP_4)
	v_add_f32_e32 v93, v123, v93
	v_sub_f32_e32 v123, v137, v144
	v_mul_f32_e32 v137, 0xbf1a4643, v44
	v_fma_f32 v15, 0x3dbcf732, v46, -v177
	v_fma_f32 v16, 0x3dbcf732, v60, -v166
	v_add_f32_e32 v13, v116, v13
	v_add_f32_e32 v93, v123, v93
	v_mul_f32_e32 v123, 0x3ee437d1, v42
	v_add_f32_e32 v89, v89, v137
	v_mul_f32_e32 v137, 0xbf7ba420, v46
	v_dual_add_f32 v17, v171, v8 :: v_dual_fmac_f32 v192, 0xbf59a7d5, v43
	s_delay_alu instid0(VALU_DEP_4) | instskip(SKIP_3) | instid1(VALU_DEP_4)
	v_dual_add_f32 v80, v80, v123 :: v_dual_mul_f32 v103, 0xbf1a4643, v54
	v_fma_f32 v141, 0xbf1a4643, v59, -v107
	v_add_f32_e32 v14, v15, v14
	v_fma_f32 v15, 0xbf1a4643, v48, -v178
	v_add_f32_e32 v80, v80, v9
	v_add_f32_e32 v17, v172, v17
	v_fmac_f32_e32 v140, 0xbf7ba420, v49
	v_fmac_f32_e32 v111, 0x3f6eb680, v53
	s_delay_alu instid0(VALU_DEP_4) | instskip(SKIP_4) | instid1(VALU_DEP_4)
	v_dual_fmac_f32 v107, 0xbf1a4643, v59 :: v_dual_add_f32 v80, v89, v80
	v_add_f32_e32 v89, v92, v137
	v_dual_add_f32 v103, v150, v103 :: v_dual_add_f32 v150, v112, v149
	v_dual_mul_f32 v112, 0xbf1a4643, v53 :: v_dual_add_f32 v119, v133, v119
	v_mul_f32_e32 v92, 0xbe8c1d8e, v48
	v_dual_mul_f32 v133, 0x3f3d2fb0, v59 :: v_dual_add_f32 v80, v89, v80
	s_delay_alu instid0(VALU_DEP_3) | instskip(SKIP_1) | instid1(VALU_DEP_4)
	v_sub_f32_e32 v112, v112, v148
	v_fma_f32 v21, 0xbf1a4643, v60, -v97
	v_add_f32_e32 v89, v100, v92
	v_add_f32_e32 v103, v103, v119
	v_dual_mul_f32 v119, 0x3f3d2fb0, v60 :: v_dual_mul_f32 v92, 0x3f3d2fb0, v50
	v_sub_f32_e32 v123, v133, v152
	s_delay_alu instid0(VALU_DEP_4) | instskip(NEXT) | instid1(VALU_DEP_3)
	v_dual_mul_f32 v133, 0x3ee437d1, v41 :: v_dual_add_f32 v80, v89, v80
	v_add_f32_e32 v119, v153, v119
	s_delay_alu instid0(VALU_DEP_4)
	v_add_f32_e32 v89, v108, v92
	v_mul_f32_e32 v92, 0x3f6eb680, v52
	v_add_f32_e32 v112, v112, v93
	v_sub_f32_e32 v78, v133, v78
	v_mul_f32_e32 v100, 0x3dbcf732, v44
	v_add_f32_e32 v80, v89, v80
	v_add_f32_e32 v89, v122, v92
	;; [unrolled: 1-line block ×3, first 2 shown]
	v_dual_mul_f32 v103, 0xbf1a4643, v43 :: v_dual_add_f32 v78, v78, v8
	v_mul_f32_e32 v92, 0x3dbcf732, v54
	v_add_f32_e32 v70, v70, v100
	v_add_f32_e32 v14, v15, v14
	s_delay_alu instid0(VALU_DEP_4) | instskip(SKIP_3) | instid1(VALU_DEP_4)
	v_dual_sub_f32 v84, v103, v84 :: v_dual_mul_f32 v103, 0xbf7ba420, v45
	v_add_f32_e32 v149, v141, v151
	v_fma_f32 v15, 0x3f6eb680, v50, -v179
	v_fmac_f32_e32 v104, 0x3ee437d1, v59
	v_add_f32_e32 v78, v84, v78
	v_sub_f32_e32 v84, v103, v90
	v_mul_f32_e32 v90, 0xbe8c1d8e, v47
	v_add_f32_e32 v14, v15, v14
	v_fma_f32 v15, 0xbf7ba420, v52, -v180
	s_delay_alu instid0(VALU_DEP_4) | instskip(NEXT) | instid1(VALU_DEP_4)
	v_add_f32_e32 v78, v84, v78
	v_sub_f32_e32 v84, v90, v98
	v_mul_f32_e32 v90, 0x3f3d2fb0, v49
	s_delay_alu instid0(VALU_DEP_4) | instskip(SKIP_1) | instid1(VALU_DEP_4)
	v_add_f32_e32 v14, v15, v14
	v_fma_f32 v15, 0x3f3d2fb0, v54, -v174
	v_add_f32_e32 v78, v84, v78
	s_delay_alu instid0(VALU_DEP_4) | instskip(SKIP_1) | instid1(VALU_DEP_4)
	v_sub_f32_e32 v84, v90, v105
	v_mul_f32_e32 v90, 0x3f6eb680, v51
	v_add_f32_e32 v14, v15, v14
	s_delay_alu instid0(VALU_DEP_3) | instskip(NEXT) | instid1(VALU_DEP_3)
	v_add_f32_e32 v78, v84, v78
	v_sub_f32_e32 v84, v90, v114
	v_mul_f32_e32 v90, 0x3f3d2fb0, v42
	s_delay_alu instid0(VALU_DEP_2) | instskip(SKIP_1) | instid1(VALU_DEP_3)
	v_add_f32_e32 v78, v84, v78
	v_add_f32_e32 v80, v89, v80
	v_dual_add_f32 v89, v135, v92 :: v_dual_add_f32 v66, v66, v90
	v_mul_f32_e32 v90, 0xbf1a4643, v46
	v_add_f32_e32 v92, v123, v112
	s_delay_alu instid0(VALU_DEP_3) | instskip(NEXT) | instid1(VALU_DEP_4)
	v_dual_add_f32 v80, v89, v80 :: v_dual_mul_f32 v89, 0x3dbcf732, v53
	v_add_f32_e32 v66, v66, v9
	s_delay_alu instid0(VALU_DEP_2) | instskip(NEXT) | instid1(VALU_DEP_2)
	v_sub_f32_e32 v84, v89, v125
	v_add_f32_e32 v66, v70, v66
	v_dual_add_f32 v70, v79, v90 :: v_dual_mul_f32 v79, 0xbf7ba420, v48
	s_delay_alu instid0(VALU_DEP_1) | instskip(SKIP_1) | instid1(VALU_DEP_2)
	v_dual_mul_f32 v98, 0xbf59a7d5, v60 :: v_dual_add_f32 v79, v85, v79
	v_mul_f32_e32 v85, 0xbf1a4643, v45
	v_add_f32_e32 v89, v143, v98
	s_delay_alu instid0(VALU_DEP_2) | instskip(SKIP_2) | instid1(VALU_DEP_4)
	v_dual_sub_f32 v77, v85, v77 :: v_dual_mul_f32 v90, 0x3dbcf732, v43
	v_add_f32_e32 v78, v84, v78
	v_add_f32_e32 v70, v70, v66
	;; [unrolled: 1-line block ×3, first 2 shown]
	v_mul_f32_e32 v85, 0x3f3d2fb0, v44
	v_sub_f32_e32 v69, v90, v69
	v_mul_f32_e32 v98, 0x3f3d2fb0, v41
	v_dual_add_f32 v70, v79, v70 :: v_dual_mul_f32 v79, 0xbf7ba420, v47
	s_delay_alu instid0(VALU_DEP_4) | instskip(SKIP_1) | instid1(VALU_DEP_4)
	v_add_f32_e32 v63, v63, v85
	v_mul_f32_e32 v89, 0x3f6eb680, v59
	v_dual_sub_f32 v65, v98, v65 :: v_dual_mul_f32 v90, 0xbe8c1d8e, v50
	s_delay_alu instid0(VALU_DEP_2) | instskip(NEXT) | instid1(VALU_DEP_2)
	v_sub_f32_e32 v89, v89, v110
	v_dual_add_f32 v65, v65, v8 :: v_dual_mul_f32 v84, 0xbf59a7d5, v59
	s_delay_alu instid0(VALU_DEP_1) | instskip(NEXT) | instid1(VALU_DEP_1)
	v_dual_add_f32 v69, v69, v65 :: v_dual_sub_f32 v84, v84, v134
	v_add_f32_e32 v69, v77, v69
	v_dual_sub_f32 v77, v79, v83 :: v_dual_mul_f32 v80, 0xbf59a7d5, v50
	v_mul_f32_e32 v79, 0xbf59a7d5, v49
	s_delay_alu instid0(VALU_DEP_4) | instskip(SKIP_1) | instid1(VALU_DEP_4)
	v_add_f32_e32 v65, v84, v78
	v_mul_f32_e32 v83, 0x3f6eb680, v42
	v_dual_add_f32 v69, v77, v69 :: v_dual_add_f32 v80, v91, v80
	v_mul_f32_e32 v77, 0x3ee437d1, v54
	v_sub_f32_e32 v79, v79, v88
	v_mul_f32_e32 v78, 0xbe8c1d8e, v52
	v_dual_mul_f32 v88, 0x3ee437d1, v53 :: v_dual_add_f32 v61, v61, v83
	s_delay_alu instid0(VALU_DEP_4) | instskip(NEXT) | instid1(VALU_DEP_4)
	v_dual_add_f32 v77, v106, v77 :: v_dual_add_f32 v70, v80, v70
	v_add_f32_e32 v69, v79, v69
	s_delay_alu instid0(VALU_DEP_4) | instskip(NEXT) | instid1(VALU_DEP_4)
	v_dual_add_f32 v78, v99, v78 :: v_dual_mul_f32 v79, 0x3f6eb680, v60
	v_add_f32_e32 v61, v61, v9
	v_mul_f32_e32 v80, 0x3f6eb680, v41
	v_sub_f32_e32 v88, v88, v102
	s_delay_alu instid0(VALU_DEP_4) | instskip(NEXT) | instid1(VALU_DEP_4)
	v_add_f32_e32 v70, v78, v70
	v_dual_mul_f32 v78, 0xbe8c1d8e, v51 :: v_dual_add_f32 v61, v63, v61
	v_mul_f32_e32 v63, 0xbf1a4643, v51
	s_delay_alu instid0(VALU_DEP_3) | instskip(NEXT) | instid1(VALU_DEP_3)
	v_dual_add_f32 v79, v115, v79 :: v_dual_add_f32 v70, v77, v70
	v_dual_mul_f32 v83, 0x3dbcf732, v47 :: v_dual_sub_f32 v78, v78, v96
	v_mul_f32_e32 v77, 0x3ee437d1, v45
	v_mul_f32_e32 v84, 0x3f3d2fb0, v43
	s_delay_alu instid0(VALU_DEP_4) | instskip(NEXT) | instid1(VALU_DEP_4)
	v_dual_mul_f32 v85, 0x3dbcf732, v48 :: v_dual_add_f32 v70, v79, v70
	v_dual_add_f32 v69, v78, v69 :: v_dual_mul_f32 v78, 0x3ee437d1, v46
	v_mul_f32_e32 v79, 0xbf59a7d5, v53
	v_sub_f32_e32 v55, v80, v55
	v_sub_f32_e32 v29, v83, v68
	s_delay_alu instid0(VALU_DEP_4) | instskip(SKIP_1) | instid1(VALU_DEP_4)
	v_add_f32_e32 v69, v88, v69
	v_dual_add_f32 v67, v67, v78 :: v_dual_mul_f32 v88, 0xbe8c1d8e, v49
	v_add_f32_e32 v35, v55, v8
	v_sub_f32_e32 v55, v84, v62
	s_delay_alu instid0(VALU_DEP_4) | instskip(SKIP_4) | instid1(VALU_DEP_4)
	v_add_f32_e32 v69, v89, v69
	v_mul_f32_e32 v89, 0xbf59a7d5, v54
	v_mul_f32_e32 v78, 0xbf1a4643, v52
	v_add_f32_e32 v8, v191, v8
	v_dual_add_f32 v34, v55, v35 :: v_dual_sub_f32 v35, v77, v64
	v_add_f32_e32 v32, v94, v89
	v_add_f32_e32 v61, v67, v61
	;; [unrolled: 1-line block ×4, first 2 shown]
	v_dual_add_f32 v18, v118, v13 :: v_dual_add_f32 v13, v16, v12
	s_delay_alu instid0(VALU_DEP_3) | instskip(SKIP_1) | instid1(VALU_DEP_3)
	v_dual_add_f32 v8, v192, v8 :: v_dual_add_f32 v61, v67, v61
	v_add_f32_e32 v67, v81, v90
	v_dual_fmac_f32 v173, 0x3dbcf732, v45 :: v_dual_add_f32 v12, v117, v18
	s_delay_alu instid0(VALU_DEP_3) | instskip(SKIP_1) | instid1(VALU_DEP_4)
	v_add_f32_e32 v8, v124, v8
	v_fma_f32 v18, 0xbe8c1d8e, v44, -v184
	v_add_f32_e32 v61, v67, v61
	s_delay_alu instid0(VALU_DEP_4) | instskip(SKIP_2) | instid1(VALU_DEP_4)
	v_add_f32_e32 v16, v173, v17
	v_fma_f32 v17, 0xbf1a4643, v42, -v183
	v_add_f32_e32 v8, v129, v8
	v_dual_add_f32 v12, v158, v12 :: v_dual_add_f32 v31, v33, v61
	v_add_f32_e32 v33, v35, v34
	v_mul_f32_e32 v71, 0xbf7ba420, v59
	s_delay_alu instid0(VALU_DEP_4) | instskip(NEXT) | instid1(VALU_DEP_4)
	v_dual_add_f32 v17, v17, v9 :: v_dual_add_f32 v8, v140, v8
	v_dual_add_f32 v30, v32, v31 :: v_dual_mul_f32 v85, 0xbf7ba420, v60
	s_delay_alu instid0(VALU_DEP_4) | instskip(NEXT) | instid1(VALU_DEP_3)
	v_dual_add_f32 v28, v29, v33 :: v_dual_sub_f32 v29, v88, v72
	v_add_f32_e32 v15, v18, v17
	v_fma_f32 v17, 0x3f6eb680, v46, -v189
	s_delay_alu instid0(VALU_DEP_4) | instskip(SKIP_2) | instid1(VALU_DEP_4)
	v_add_f32_e32 v31, v101, v85
	v_fma_f32 v18, 0xbe8c1d8e, v60, -v175
	v_dual_add_f32 v27, v29, v28 :: v_dual_sub_f32 v28, v63, v82
	v_add_f32_e32 v15, v17, v15
	v_fma_f32 v17, 0xbf59a7d5, v48, -v186
	v_dual_add_f32 v8, v109, v8 :: v_dual_sub_f32 v25, v71, v95
	s_delay_alu instid0(VALU_DEP_4) | instskip(SKIP_1) | instid1(VALU_DEP_3)
	v_add_f32_e32 v26, v28, v27
	v_sub_f32_e32 v27, v79, v87
	v_dual_add_f32 v17, v17, v15 :: v_dual_add_f32 v22, v111, v8
	v_add_f32_e32 v15, v18, v14
	v_add_f32_e32 v18, v182, v19
	v_fma_f32 v19, 0xbe8c1d8e, v42, -v193
	v_add_f32_e32 v24, v31, v30
	s_delay_alu instid0(VALU_DEP_3) | instskip(NEXT) | instid1(VALU_DEP_1)
	v_add_f32_e32 v18, v170, v18
	v_add_f32_e32 v18, v164, v18
	s_delay_alu instid0(VALU_DEP_1) | instskip(NEXT) | instid1(VALU_DEP_1)
	v_add_f32_e32 v18, v162, v18
	v_add_f32_e32 v18, v160, v18
	s_delay_alu instid0(VALU_DEP_1)
	v_add_f32_e32 v18, v159, v18
	v_add_f32_e32 v9, v19, v9
	v_fma_f32 v19, 0xbf7ba420, v54, -v169
	v_fmac_f32_e32 v165, 0xbf1a4643, v47
	v_add_f32_e32 v23, v27, v26
	v_add_f32_e32 v8, v104, v18
	s_delay_alu instid0(VALU_DEP_3) | instskip(NEXT) | instid1(VALU_DEP_1)
	v_add_f32_e32 v16, v165, v16
	v_dual_add_f32 v16, v167, v16 :: v_dual_add_f32 v23, v25, v23
	s_delay_alu instid0(VALU_DEP_1) | instskip(NEXT) | instid1(VALU_DEP_1)
	v_add_f32_e32 v16, v168, v16
	v_add_f32_e32 v16, v161, v16
	s_delay_alu instid0(VALU_DEP_1) | instskip(SKIP_3) | instid1(VALU_DEP_2)
	v_add_f32_e32 v14, v190, v16
	v_add_f32_e32 v16, v20, v17
	v_fma_f32 v17, 0x3f3d2fb0, v52, -v188
	v_fma_f32 v20, 0x3f6eb680, v54, -v113
	v_add_f32_e32 v16, v17, v16
	v_fma_f32 v17, 0xbf59a7d5, v44, -v194
	s_delay_alu instid0(VALU_DEP_1) | instskip(SKIP_2) | instid1(VALU_DEP_2)
	v_dual_add_f32 v16, v19, v16 :: v_dual_add_f32 v9, v17, v9
	v_fma_f32 v17, 0x3f3d2fb0, v46, -v195
	v_fma_f32 v19, 0x3ee437d1, v60, -v163
	v_add_f32_e32 v9, v17, v9
	v_fma_f32 v17, 0x3ee437d1, v48, -v142
	s_delay_alu instid0(VALU_DEP_1) | instskip(SKIP_1) | instid1(VALU_DEP_1)
	v_add_f32_e32 v9, v17, v9
	v_fma_f32 v17, 0xbf7ba420, v50, -v146
	v_add_f32_e32 v9, v17, v9
	v_fma_f32 v17, 0x3dbcf732, v52, -v145
	s_delay_alu instid0(VALU_DEP_1) | instskip(SKIP_1) | instid1(VALU_DEP_2)
	v_add_f32_e32 v9, v17, v9
	v_mul_lo_u16 v17, v75, 17
	v_add_f32_e32 v20, v20, v9
	s_delay_alu instid0(VALU_DEP_2) | instskip(SKIP_2) | instid1(VALU_DEP_3)
	v_and_b32_e32 v17, 0xffff, v17
	v_add_f32_e32 v9, v19, v16
	v_add_f32_e32 v16, v107, v22
	v_add_lshl_u32 v25, v40, v17, 3
	v_add_f32_e32 v17, v21, v20
	ds_store_2addr_b64 v25, v[4:5], v[23:24] offset1:1
	ds_store_2addr_b64 v25, v[69:70], v[65:66] offset0:2 offset1:3
	ds_store_2addr_b64 v25, v[92:93], v[149:150] offset0:4 offset1:5
	;; [unrolled: 1-line block ×7, first 2 shown]
	ds_store_b64 v25, v[57:58] offset:128
.LBB0_7:
	s_wait_alu 0xfffe
	s_or_b32 exec_lo, exec_lo, s0
	v_mul_u32_u24_e32 v4, 12, v75
	s_load_b128 s[0:3], s[2:3], 0x0
	global_wb scope:SCOPE_SE
	s_wait_dscnt 0x0
	s_wait_kmcnt 0x0
	s_barrier_signal -1
	s_barrier_wait -1
	v_lshlrev_b32_e32 v4, 3, v4
	global_inv scope:SCOPE_SE
	v_add_lshl_u32 v78, v40, v75, 3
	s_clause 0x5
	global_load_b128 v[28:31], v4, s[6:7]
	global_load_b128 v[24:27], v4, s[6:7] offset:16
	global_load_b128 v[16:19], v4, s[6:7] offset:32
	;; [unrolled: 1-line block ×5, first 2 shown]
	ds_load_2addr_b64 v[32:35], v78 offset1:17
	ds_load_2addr_b64 v[41:44], v78 offset0:34 offset1:51
	ds_load_2addr_b64 v[49:52], v78 offset0:68 offset1:85
	;; [unrolled: 1-line block ×5, first 2 shown]
	ds_load_b64 v[53:54], v78 offset:1632
	s_wait_loadcnt_dscnt 0x506
	v_mul_f32_e32 v45, v35, v29
	s_wait_loadcnt_dscnt 0x303
	v_dual_mul_f32 v55, v34, v29 :: v_dual_mul_f32 v4, v59, v19
	v_dual_mul_f32 v48, v42, v31 :: v_dual_mul_f32 v77, v43, v25
	;; [unrolled: 1-line block ×5, first 2 shown]
	s_wait_loadcnt_dscnt 0x101
	v_dual_mul_f32 v36, v65, v21 :: v_dual_mul_f32 v85, v68, v23
	s_wait_loadcnt 0x0
	v_dual_mul_f32 v37, v67, v23 :: v_dual_mul_f32 v86, v70, v13
	s_wait_dscnt 0x0
	v_dual_mul_f32 v38, v69, v13 :: v_dual_mul_f32 v87, v54, v15
	v_dual_mul_f32 v39, v53, v15 :: v_dual_fmac_f32 v46, v52, v16
	v_fma_f32 v88, v34, v28, -v45
	v_dual_fmac_f32 v55, v35, v28 :: v_dual_fmac_f32 v4, v60, v18
	v_dual_mul_f32 v5, v61, v9 :: v_dual_mul_f32 v40, v63, v11
	v_dual_mul_f32 v83, v64, v11 :: v_dual_mul_f32 v84, v66, v21
	v_fma_f32 v89, v41, v30, -v48
	v_fmac_f32_e32 v71, v42, v30
	v_fma_f32 v72, v43, v24, -v72
	v_fma_f32 v48, v51, v16, -v80
	v_dual_fmac_f32 v36, v66, v20 :: v_dual_fmac_f32 v37, v68, v22
	v_fma_f32 v43, v67, v22, -v85
	v_fma_f32 v41, v53, v14, -v87
	v_fmac_f32_e32 v47, v50, v26
	v_fmac_f32_e32 v39, v54, v14
	v_dual_fmac_f32 v38, v70, v12 :: v_dual_add_f32 v51, v33, v55
	v_add_f32_e32 v50, v32, v88
	v_fmac_f32_e32 v77, v44, v24
	v_dual_mul_f32 v81, v60, v19 :: v_dual_mul_f32 v82, v62, v9
	v_fma_f32 v49, v49, v26, -v79
	v_dual_fmac_f32 v5, v62, v8 :: v_dual_fmac_f32 v40, v64, v10
	v_fma_f32 v44, v65, v20, -v84
	v_fma_f32 v42, v69, v12, -v86
	v_sub_f32_e32 v54, v88, v41
	v_add_f32_e32 v60, v71, v38
	v_dual_add_f32 v53, v55, v39 :: v_dual_add_f32 v64, v77, v37
	v_dual_sub_f32 v55, v55, v39 :: v_dual_sub_f32 v66, v77, v37
	v_dual_sub_f32 v65, v72, v43 :: v_dual_add_f32 v80, v46, v40
	v_fma_f32 v35, v61, v8, -v82
	v_fma_f32 v45, v63, v10, -v83
	v_dual_add_f32 v52, v88, v41 :: v_dual_sub_f32 v61, v89, v42
	v_sub_f32_e32 v70, v47, v36
	v_dual_sub_f32 v62, v71, v38 :: v_dual_add_f32 v63, v72, v43
	v_dual_add_f32 v67, v49, v44 :: v_dual_add_f32 v50, v50, v89
	v_dual_sub_f32 v69, v49, v44 :: v_dual_mul_f32 v84, 0xbf52af12, v55
	v_add_f32_e32 v51, v51, v71
	s_delay_alu instid0(VALU_DEP_3)
	v_dual_mul_f32 v71, 0xbeedf032, v55 :: v_dual_add_f32 v50, v50, v72
	v_dual_mul_f32 v110, 0xbf52af12, v66 :: v_dual_mul_f32 v111, 0xbf52af12, v65
	v_fma_f32 v34, v59, v18, -v81
	v_dual_add_f32 v59, v89, v42 :: v_dual_add_f32 v68, v47, v36
	v_dual_sub_f32 v81, v48, v45 :: v_dual_mul_f32 v86, 0xbf7e222b, v55
	v_mul_f32_e32 v85, 0xbf52af12, v54
	v_dual_mul_f32 v88, 0xbf6f5d39, v55 :: v_dual_mul_f32 v89, 0xbf6f5d39, v54
	v_dual_mul_f32 v90, 0xbf29c268, v55 :: v_dual_mul_f32 v91, 0xbf29c268, v54
	;; [unrolled: 1-line block ×4, first 2 shown]
	v_fma_f32 v72, 0x3f62ad3f, v52, -v71
	v_mul_f32_e32 v83, 0xbeedf032, v54
	v_fma_f32 v132, 0x3f116cb1, v52, -v84
	v_dual_fmac_f32 v84, 0x3f116cb1, v52 :: v_dual_fmamk_f32 v159, v64, 0x3f116cb1, v111
	v_mul_f32_e32 v87, 0xbf7e222b, v54
	v_dual_mul_f32 v54, 0xbe750f2a, v54 :: v_dual_add_f32 v79, v48, v45
	v_sub_f32_e32 v82, v46, v40
	v_dual_mul_f32 v94, 0xbf6f5d39, v62 :: v_dual_mul_f32 v95, 0xbf6f5d39, v61
	v_dual_mul_f32 v97, 0xbe750f2a, v61 :: v_dual_mul_f32 v104, 0xbe750f2a, v66
	;; [unrolled: 1-line block ×6, first 2 shown]
	v_add_f32_e32 v51, v51, v77
	v_fmac_f32_e32 v71, 0x3f62ad3f, v52
	v_fma_f32 v134, 0x3df6dbef, v52, -v86
	v_fmac_f32_e32 v86, 0x3df6dbef, v52
	v_fma_f32 v136, 0xbeb58ec6, v52, -v88
	v_dual_fmamk_f32 v137, v53, 0xbeb58ec6, v89 :: v_dual_fmac_f32 v88, 0xbeb58ec6, v52
	v_fma_f32 v138, 0xbf3f9e67, v52, -v90
	v_dual_fmamk_f32 v139, v53, 0xbf3f9e67, v91 :: v_dual_fmac_f32 v90, 0xbf3f9e67, v52
	v_fma_f32 v140, 0xbf788fa5, v52, -v55
	v_dual_fmamk_f32 v141, v53, 0xbf788fa5, v54 :: v_dual_add_f32 v86, v32, v86
	v_fmac_f32_e32 v55, 0xbf788fa5, v52
	v_fma_f32 v52, 0xbf788fa5, v53, -v54
	v_dual_fmamk_f32 v54, v60, 0x3f116cb1, v93 :: v_dual_add_f32 v49, v50, v49
	v_dual_add_f32 v50, v32, v72 :: v_dual_fmamk_f32 v77, v53, 0x3f62ad3f, v83
	v_fma_f32 v83, 0x3f62ad3f, v53, -v83
	v_dual_mul_f32 v126, 0xbf52af12, v82 :: v_dual_mul_f32 v127, 0xbf52af12, v81
	v_dual_add_f32 v84, v32, v84 :: v_dual_fmamk_f32 v135, v53, 0x3df6dbef, v87
	v_fma_f32 v87, 0x3df6dbef, v53, -v87
	s_delay_alu instid0(VALU_DEP_4)
	v_add_f32_e32 v72, v33, v83
	v_fmamk_f32 v133, v53, 0x3f116cb1, v85
	v_fma_f32 v85, 0x3f116cb1, v53, -v85
	v_mul_f32_e32 v105, 0xbe750f2a, v65
	v_dual_mul_f32 v116, 0x3eedf032, v70 :: v_dual_mul_f32 v117, 0x3eedf032, v69
	v_dual_mul_f32 v124, 0x3f7e222b, v82 :: v_dual_mul_f32 v125, 0x3f7e222b, v81
	;; [unrolled: 1-line block ×3, first 2 shown]
	v_fma_f32 v89, 0xbeb58ec6, v53, -v89
	v_fma_f32 v91, 0xbf3f9e67, v53, -v91
	;; [unrolled: 1-line block ×3, first 2 shown]
	v_fmac_f32_e32 v92, 0x3f116cb1, v59
	v_fma_f32 v142, 0xbeb58ec6, v59, -v94
	v_dual_fmamk_f32 v143, v60, 0xbeb58ec6, v95 :: v_dual_fmac_f32 v94, 0xbeb58ec6, v59
	v_fma_f32 v146, 0xbf3f9e67, v59, -v98
	v_fma_f32 v150, 0x3f62ad3f, v59, -v62
	v_fmac_f32_e32 v62, 0x3f62ad3f, v59
	v_fma_f32 v156, 0x3f62ad3f, v63, -v108
	v_fmac_f32_e32 v108, 0x3f62ad3f, v63
	;; [unrolled: 2-line block ×3, first 2 shown]
	v_add_f32_e32 v47, v51, v47
	v_add_f32_e32 v51, v33, v77
	;; [unrolled: 1-line block ×3, first 2 shown]
	v_dual_add_f32 v85, v33, v85 :: v_dual_add_f32 v132, v32, v134
	v_dual_add_f32 v87, v33, v87 :: v_dual_add_f32 v134, v32, v136
	v_add_f32_e32 v71, v32, v71
	v_add_f32_e32 v136, v32, v138
	;; [unrolled: 1-line block ×3, first 2 shown]
	v_dual_mul_f32 v102, 0xbf7e222b, v66 :: v_dual_mul_f32 v103, 0xbf7e222b, v65
	v_dual_mul_f32 v106, 0x3f6f5d39, v66 :: v_dual_mul_f32 v107, 0x3f6f5d39, v65
	;; [unrolled: 1-line block ×5, first 2 shown]
	v_fma_f32 v93, 0x3f116cb1, v60, -v93
	v_fma_f32 v144, 0xbf788fa5, v59, -v96
	v_dual_fmamk_f32 v145, v60, 0xbf788fa5, v97 :: v_dual_fmac_f32 v96, 0xbf788fa5, v59
	v_fma_f32 v97, 0xbf788fa5, v60, -v97
	v_dual_fmamk_f32 v147, v60, 0xbf3f9e67, v99 :: v_dual_fmac_f32 v98, 0xbf3f9e67, v59
	v_fma_f32 v99, 0xbf3f9e67, v60, -v99
	v_fma_f32 v148, 0x3df6dbef, v59, -v100
	v_dual_fmamk_f32 v149, v60, 0x3df6dbef, v101 :: v_dual_fmac_f32 v100, 0x3df6dbef, v59
	v_fma_f32 v101, 0x3df6dbef, v60, -v101
	v_fma_f32 v59, 0x3f62ad3f, v60, -v61
	;; [unrolled: 1-line block ×3, first 2 shown]
	v_dual_fmamk_f32 v157, v64, 0x3f62ad3f, v109 :: v_dual_add_f32 v48, v49, v48
	v_dual_fmamk_f32 v165, v68, 0x3f62ad3f, v117 :: v_dual_add_f32 v46, v47, v46
	v_fmamk_f32 v177, v80, 0xbf788fa5, v129
	v_dual_add_f32 v83, v33, v133 :: v_dual_add_f32 v88, v32, v88
	v_dual_add_f32 v133, v33, v135 :: v_dual_add_f32 v90, v32, v90
	;; [unrolled: 1-line block ×3, first 2 shown]
	v_add_f32_e32 v137, v33, v139
	v_add_f32_e32 v91, v33, v91
	s_delay_alu instid0(VALU_DEP_4) | instskip(NEXT) | instid1(VALU_DEP_4)
	v_dual_add_f32 v139, v33, v141 :: v_dual_add_f32 v90, v100, v90
	v_dual_add_f32 v47, v53, v50 :: v_dual_add_f32 v32, v62, v32
	v_add_f32_e32 v49, v54, v51
	v_add_f32_e32 v54, v94, v84
	v_dual_add_f32 v84, v146, v134 :: v_dual_add_f32 v89, v33, v89
	v_dual_add_f32 v50, v92, v71 :: v_dual_add_f32 v33, v33, v52
	v_add_f32_e32 v48, v48, v34
	v_dual_add_f32 v92, v150, v138 :: v_dual_fmamk_f32 v173, v80, 0x3df6dbef, v125
	v_add_f32_e32 v52, v142, v77
	v_dual_mul_f32 v112, 0xbf6f5d39, v70 :: v_dual_mul_f32 v113, 0xbf6f5d39, v69
	v_dual_mul_f32 v118, 0xbf7e222b, v70 :: v_dual_mul_f32 v119, 0xbf7e222b, v69
	;; [unrolled: 1-line block ×4, first 2 shown]
	v_fma_f32 v95, 0xbeb58ec6, v60, -v95
	v_fmamk_f32 v151, v60, 0x3f62ad3f, v61
	v_fma_f32 v60, 0x3df6dbef, v63, -v102
	v_fmac_f32_e32 v102, 0x3df6dbef, v63
	v_fmac_f32_e32 v104, 0xbf788fa5, v63
	v_fma_f32 v154, 0xbeb58ec6, v63, -v106
	v_dual_fmamk_f32 v155, v64, 0xbeb58ec6, v107 :: v_dual_fmac_f32 v106, 0xbeb58ec6, v63
	v_fma_f32 v107, 0xbeb58ec6, v64, -v107
	v_fma_f32 v109, 0x3f62ad3f, v64, -v109
	;; [unrolled: 1-line block ×3, first 2 shown]
	v_dual_fmac_f32 v110, 0x3f116cb1, v63 :: v_dual_fmamk_f32 v171, v68, 0x3f116cb1, v69
	v_fma_f32 v111, 0x3f116cb1, v64, -v111
	v_fma_f32 v160, 0xbf3f9e67, v63, -v66
	v_dual_fmamk_f32 v161, v64, 0xbf3f9e67, v65 :: v_dual_fmac_f32 v66, 0xbf3f9e67, v63
	v_fma_f32 v63, 0xbf3f9e67, v64, -v65
	v_fma_f32 v162, 0xbf3f9e67, v67, -v114
	v_fmamk_f32 v179, v80, 0x3f62ad3f, v131
	v_dual_add_f32 v51, v93, v72 :: v_dual_add_f32 v50, v102, v50
	v_dual_add_f32 v53, v143, v83 :: v_dual_add_f32 v46, v46, v4
	;; [unrolled: 1-line block ×3, first 2 shown]
	v_add_f32_e32 v86, v98, v88
	v_dual_add_f32 v88, v148, v136 :: v_dual_add_f32 v83, v97, v87
	v_add_f32_e32 v71, v144, v132
	v_add_f32_e32 v87, v99, v89
	v_dual_add_f32 v91, v101, v91 :: v_dual_add_f32 v46, v46, v5
	v_dual_add_f32 v33, v59, v33 :: v_dual_add_f32 v48, v48, v35
	v_add_f32_e32 v52, v152, v52
	v_fmamk_f32 v61, v64, 0x3df6dbef, v103
	v_fma_f32 v103, 0x3df6dbef, v64, -v103
	v_fmamk_f32 v153, v64, 0xbf788fa5, v105
	v_fma_f32 v105, 0xbf788fa5, v64, -v105
	v_fma_f32 v64, 0xbeb58ec6, v67, -v112
	v_dual_fmamk_f32 v65, v68, 0xbeb58ec6, v113 :: v_dual_fmac_f32 v112, 0xbeb58ec6, v67
	v_dual_fmamk_f32 v163, v68, 0xbf3f9e67, v115 :: v_dual_fmac_f32 v114, 0xbf3f9e67, v67
	v_fma_f32 v164, 0x3f62ad3f, v67, -v116
	v_fmac_f32_e32 v116, 0x3f62ad3f, v67
	v_fma_f32 v117, 0x3f62ad3f, v68, -v117
	v_fma_f32 v166, 0x3df6dbef, v67, -v118
	v_dual_fmamk_f32 v167, v68, 0x3df6dbef, v119 :: v_dual_fmac_f32 v118, 0x3df6dbef, v67
	v_fma_f32 v119, 0x3df6dbef, v68, -v119
	v_fma_f32 v168, 0xbf788fa5, v67, -v120
	v_dual_fmamk_f32 v169, v68, 0xbf788fa5, v121 :: v_dual_fmac_f32 v120, 0xbf788fa5, v67
	v_fma_f32 v121, 0xbf788fa5, v68, -v121
	v_fma_f32 v170, 0x3f116cb1, v67, -v70
	v_dual_fmac_f32 v70, 0x3f116cb1, v67 :: v_dual_fmamk_f32 v175, v80, 0x3f116cb1, v127
	v_fma_f32 v67, 0x3f116cb1, v68, -v69
	v_fma_f32 v172, 0x3df6dbef, v79, -v124
	v_dual_add_f32 v89, v149, v137 :: v_dual_add_f32 v32, v66, v32
	v_dual_add_f32 v47, v60, v47 :: v_dual_add_f32 v52, v162, v52
	v_add_f32_e32 v60, v155, v72
	v_add_f32_e32 v62, v107, v83
	;; [unrolled: 1-line block ×5, first 2 shown]
	v_dual_add_f32 v88, v160, v92 :: v_dual_add_f32 v83, v109, v87
	v_dual_add_f32 v70, v70, v32 :: v_dual_add_f32 v87, v111, v91
	v_add_f32_e32 v32, v48, v45
	v_dual_add_f32 v33, v63, v33 :: v_dual_add_f32 v48, v172, v52
	v_dual_mul_f32 v122, 0xbf29c268, v82 :: v_dual_mul_f32 v123, 0xbf29c268, v81
	v_fma_f32 v127, 0x3f116cb1, v80, -v127
	v_dual_add_f32 v55, v95, v85 :: v_dual_add_f32 v54, v104, v54
	v_add_f32_e32 v85, v147, v135
	v_dual_add_f32 v49, v61, v49 :: v_dual_add_f32 v50, v112, v50
	v_dual_add_f32 v61, v106, v77 :: v_dual_add_f32 v62, v117, v62
	v_add_f32_e32 v66, v119, v83
	v_add_f32_e32 v83, v121, v87
	;; [unrolled: 1-line block ×4, first 2 shown]
	v_fma_f32 v113, 0xbeb58ec6, v68, -v113
	v_fma_f32 v115, 0xbf3f9e67, v68, -v115
	;; [unrolled: 1-line block ×4, first 2 shown]
	v_dual_fmac_f32 v128, 0xbf788fa5, v79 :: v_dual_add_f32 v77, v108, v86
	v_dual_add_f32 v86, v110, v90 :: v_dual_add_f32 v93, v151, v139
	v_dual_add_f32 v72, v157, v85 :: v_dual_add_f32 v47, v64, v47
	v_add_f32_e32 v52, v127, v62
	v_add_f32_e32 v85, v159, v89
	v_dual_add_f32 v49, v65, v49 :: v_dual_add_f32 v32, v32, v44
	v_add_f32_e32 v33, v33, v36
	v_dual_fmamk_f32 v69, v80, 0xbf3f9e67, v123 :: v_dual_fmac_f32 v122, 0xbf3f9e67, v79
	v_dual_fmac_f32 v124, 0x3df6dbef, v79 :: v_dual_add_f32 v53, v153, v53
	v_dual_add_f32 v64, v167, v72 :: v_dual_add_f32 v55, v105, v55
	v_add_f32_e32 v40, v68, v47
	v_add_f32_e32 v72, v169, v85
	v_dual_add_f32 v65, v118, v77 :: v_dual_add_f32 v32, v32, v43
	v_add_f32_e32 v33, v33, v37
	v_fma_f32 v125, 0x3df6dbef, v80, -v125
	v_dual_add_f32 v51, v103, v51 :: v_dual_add_f32 v54, v114, v54
	v_add_f32_e32 v63, v166, v71
	v_add_f32_e32 v71, v168, v84
	v_dual_add_f32 v84, v170, v88 :: v_dual_add_f32 v55, v115, v55
	v_dual_add_f32 v32, v32, v42 :: v_dual_add_f32 v53, v163, v53
	v_dual_add_f32 v45, v69, v49 :: v_dual_sub_f32 v68, v34, v35
	v_add_f32_e32 v33, v33, v38
	v_mul_f32_e32 v38, 0xbf6f5d39, v82
	v_fma_f32 v123, 0xbf3f9e67, v80, -v123
	v_fma_f32 v129, 0xbf788fa5, v80, -v129
	v_fma_f32 v178, 0x3f62ad3f, v79, -v130
	v_dual_add_f32 v89, v161, v93 :: v_dual_add_f32 v46, v122, v50
	v_dual_add_f32 v51, v113, v51 :: v_dual_add_f32 v36, v124, v54
	;; [unrolled: 1-line block ×4, first 2 shown]
	v_add_f32_e32 v44, v125, v55
	v_add_f32_e32 v49, v173, v53
	;; [unrolled: 1-line block ×4, first 2 shown]
	v_fma_f32 v41, 0xbeb58ec6, v79, -v38
	v_dual_fmac_f32 v38, 0xbeb58ec6, v79 :: v_dual_add_f32 v69, v4, v5
	v_mul_f32_e32 v43, 0xbf29c268, v68
	v_sub_f32_e32 v63, v4, v5
	v_add_f32_e32 v77, v120, v86
	v_dual_add_f32 v85, v171, v89 :: v_dual_fmac_f32 v130, 0x3f62ad3f, v79
	v_dual_add_f32 v50, v174, v59 :: v_dual_add_f32 v59, v129, v66
	v_mul_f32_e32 v42, 0xbf6f5d39, v81
	v_dual_add_f32 v66, v34, v35 :: v_dual_mul_f32 v5, 0xbe750f2a, v68
	v_dual_add_f32 v37, v175, v60 :: v_dual_add_f32 v60, v178, v71
	v_dual_add_f32 v47, v123, v51 :: v_dual_add_f32 v62, v130, v77
	v_add_f32_e32 v51, v126, v61
	v_add_f32_e32 v70, v38, v70
	v_dual_mul_f32 v38, 0x3eedf032, v63 :: v_dual_add_f32 v55, v128, v65
	v_add_f32_e32 v65, v41, v84
	v_mul_f32_e32 v41, 0xbe750f2a, v63
	v_fma_f32 v34, 0xbeb58ec6, v80, -v42
	v_lshl_add_u32 v77, v75, 3, v76
	s_delay_alu instid0(VALU_DEP_3) | instskip(NEXT) | instid1(VALU_DEP_3)
	v_fma_f32 v4, 0xbf788fa5, v66, -v41
	v_add_f32_e32 v67, v34, v67
	s_delay_alu instid0(VALU_DEP_2) | instskip(SKIP_2) | instid1(VALU_DEP_2)
	v_dual_fmac_f32 v41, 0xbf788fa5, v66 :: v_dual_add_f32 v34, v4, v40
	v_fma_f32 v40, 0x3f62ad3f, v66, -v38
	v_fmac_f32_e32 v38, 0x3f62ad3f, v66
	v_dual_add_f32 v40, v40, v48 :: v_dual_add_f32 v33, v33, v39
	s_delay_alu instid0(VALU_DEP_2)
	v_add_f32_e32 v38, v38, v36
	v_fma_f32 v39, 0x3f62ad3f, v80, -v131
	v_mul_f32_e32 v48, 0x3f52af12, v68
	v_fmamk_f32 v4, v69, 0xbf788fa5, v5
	v_fmamk_f32 v36, v69, 0xbf3f9e67, v43
	v_fma_f32 v5, 0xbf788fa5, v69, -v5
	v_dual_add_f32 v64, v39, v83 :: v_dual_fmamk_f32 v39, v80, 0xbeb58ec6, v42
	s_delay_alu instid0(VALU_DEP_4) | instskip(SKIP_1) | instid1(VALU_DEP_3)
	v_dual_add_f32 v35, v4, v45 :: v_dual_add_f32 v4, v41, v46
	v_mul_f32_e32 v45, 0xbf29c268, v63
	v_dual_mul_f32 v46, 0x3f52af12, v63 :: v_dual_add_f32 v71, v39, v85
	v_mul_f32_e32 v39, 0x3eedf032, v68
	s_delay_alu instid0(VALU_DEP_3) | instskip(SKIP_2) | instid1(VALU_DEP_4)
	v_fma_f32 v42, 0xbf3f9e67, v66, -v45
	v_fmac_f32_e32 v45, 0xbf3f9e67, v66
	v_add_f32_e32 v61, v179, v72
	v_fmamk_f32 v41, v69, 0x3f62ad3f, v39
	v_fma_f32 v39, 0x3f62ad3f, v69, -v39
	s_delay_alu instid0(VALU_DEP_2) | instskip(NEXT) | instid1(VALU_DEP_2)
	v_dual_add_f32 v42, v42, v50 :: v_dual_add_f32 v41, v41, v49
	v_add_f32_e32 v39, v39, v44
	v_fma_f32 v44, 0xbf3f9e67, v69, -v43
	v_dual_add_f32 v43, v36, v37 :: v_dual_add_f32 v36, v45, v51
	v_fmamk_f32 v45, v69, 0x3f116cb1, v48
	v_mul_f32_e32 v49, 0xbf6f5d39, v63
	s_delay_alu instid0(VALU_DEP_4) | instskip(NEXT) | instid1(VALU_DEP_3)
	v_add_f32_e32 v37, v44, v52
	v_dual_mul_f32 v52, 0xbf6f5d39, v68 :: v_dual_add_f32 v45, v45, v54
	v_mul_f32_e32 v54, 0x3f7e222b, v63
	v_add_f32_e32 v5, v5, v47
	v_fma_f32 v47, 0x3f116cb1, v66, -v46
	v_fmac_f32_e32 v46, 0x3f116cb1, v66
	s_delay_alu instid0(VALU_DEP_2) | instskip(SKIP_1) | instid1(VALU_DEP_3)
	v_add_f32_e32 v44, v47, v53
	v_fma_f32 v47, 0x3f116cb1, v69, -v48
	v_add_f32_e32 v50, v46, v55
	v_fma_f32 v46, 0xbeb58ec6, v66, -v49
	v_fmac_f32_e32 v49, 0xbeb58ec6, v66
	v_mul_f32_e32 v53, 0x3f7e222b, v68
	v_add_f32_e32 v51, v47, v59
	s_delay_alu instid0(VALU_DEP_4) | instskip(NEXT) | instid1(VALU_DEP_4)
	v_dual_fmamk_f32 v47, v69, 0xbeb58ec6, v52 :: v_dual_add_f32 v46, v46, v60
	v_add_f32_e32 v48, v49, v62
	v_fma_f32 v49, 0x3df6dbef, v66, -v54
	v_fmac_f32_e32 v54, 0x3df6dbef, v66
	v_fma_f32 v59, 0xbeb58ec6, v69, -v52
	v_fmamk_f32 v55, v69, 0x3df6dbef, v53
	v_fma_f32 v60, 0x3df6dbef, v69, -v53
	v_add_f32_e32 v47, v47, v61
	v_add_f32_e32 v52, v49, v65
	s_delay_alu instid0(VALU_DEP_4) | instskip(NEXT) | instid1(VALU_DEP_4)
	v_dual_add_f32 v54, v54, v70 :: v_dual_add_f32 v53, v55, v71
	v_add_f32_e32 v55, v60, v67
	v_add_f32_e32 v49, v59, v64
	ds_store_2addr_b64 v77, v[32:33], v[34:35] offset1:17
	ds_store_2addr_b64 v77, v[40:41], v[42:43] offset0:34 offset1:51
	ds_store_2addr_b64 v77, v[44:45], v[46:47] offset0:68 offset1:85
	;; [unrolled: 1-line block ×5, first 2 shown]
	ds_store_b64 v77, v[4:5] offset:1632
	global_wb scope:SCOPE_SE
	s_wait_dscnt 0x0
	s_barrier_signal -1
	s_barrier_wait -1
	global_inv scope:SCOPE_SE
	s_and_saveexec_b32 s8, vcc_lo
	s_cbranch_execz .LBB0_9
; %bb.8:
	s_add_nc_u64 s[6:7], s[4:5], 0x6e8
	s_clause 0x10
	global_load_b64 v[71:72], v74, s[4:5] offset:1768
	global_load_b64 v[99:100], v74, s[6:7] offset:104
	;; [unrolled: 1-line block ×17, first 2 shown]
	ds_load_2addr_b64 v[59:62], v77 offset1:13
	ds_load_2addr_b64 v[63:66], v77 offset0:26 offset1:39
	ds_load_2addr_b64 v[67:70], v77 offset0:52 offset1:65
	;; [unrolled: 1-line block ×7, first 2 shown]
	ds_load_b64 v[131:132], v77 offset:1664
	s_wait_loadcnt_dscnt 0x1008
	v_mul_f32_e32 v133, v60, v72
	v_mul_f32_e32 v134, v59, v72
	s_wait_loadcnt_dscnt 0xe07
	v_dual_mul_f32 v135, v62, v100 :: v_dual_mul_f32 v136, v64, v102
	v_mul_f32_e32 v72, v61, v100
	s_wait_loadcnt 0xd
	v_dual_mul_f32 v100, v63, v102 :: v_dual_mul_f32 v137, v66, v104
	s_wait_loadcnt_dscnt 0xc06
	v_mul_f32_e32 v138, v68, v106
	v_mul_f32_e32 v102, v65, v104
	s_wait_loadcnt 0xb
	v_dual_mul_f32 v104, v67, v106 :: v_dual_mul_f32 v139, v70, v108
	v_mul_f32_e32 v106, v69, v108
	s_wait_loadcnt_dscnt 0x905
	v_dual_mul_f32 v140, v80, v110 :: v_dual_mul_f32 v141, v82, v112
	s_wait_loadcnt_dscnt 0x704
	v_dual_mul_f32 v108, v79, v110 :: v_dual_mul_f32 v143, v86, v116
	v_mul_f32_e32 v110, v81, v112
	s_wait_loadcnt_dscnt 0x503
	v_dual_mul_f32 v142, v84, v114 :: v_dual_mul_f32 v145, v90, v120
	s_wait_loadcnt_dscnt 0x302
	v_dual_mul_f32 v112, v83, v114 :: v_dual_mul_f32 v147, v94, v124
	v_mul_f32_e32 v114, v85, v116
	s_wait_loadcnt_dscnt 0x101
	v_dual_mul_f32 v144, v88, v118 :: v_dual_mul_f32 v149, v98, v128
	v_mul_f32_e32 v116, v87, v118
	v_mul_f32_e32 v118, v89, v120
	;; [unrolled: 1-line block ×8, first 2 shown]
	s_wait_loadcnt_dscnt 0x0
	v_mul_f32_e32 v150, v132, v130
	v_mul_f32_e32 v128, v131, v130
	v_fma_f32 v133, v59, v71, -v133
	v_fmac_f32_e32 v134, v60, v71
	v_fma_f32 v71, v61, v99, -v135
	v_fmac_f32_e32 v72, v62, v99
	;; [unrolled: 2-line block ×17, first 2 shown]
	ds_store_2addr_b64 v77, v[133:134], v[71:72] offset1:13
	ds_store_2addr_b64 v77, v[99:100], v[101:102] offset0:26 offset1:39
	ds_store_2addr_b64 v77, v[103:104], v[105:106] offset0:52 offset1:65
	;; [unrolled: 1-line block ×7, first 2 shown]
	ds_store_b64 v77, v[127:128] offset:1664
.LBB0_9:
	s_wait_alu 0xfffe
	s_or_b32 exec_lo, exec_lo, s8
	global_wb scope:SCOPE_SE
	s_wait_dscnt 0x0
	s_barrier_signal -1
	s_barrier_wait -1
	global_inv scope:SCOPE_SE
	s_and_saveexec_b32 s6, vcc_lo
	s_cbranch_execz .LBB0_11
; %bb.10:
	ds_load_2addr_b64 v[32:35], v77 offset1:13
	ds_load_2addr_b64 v[40:43], v77 offset0:26 offset1:39
	ds_load_2addr_b64 v[44:47], v77 offset0:52 offset1:65
	ds_load_2addr_b64 v[52:55], v77 offset0:78 offset1:91
	ds_load_2addr_b64 v[48:51], v77 offset0:104 offset1:117
	ds_load_2addr_b64 v[36:39], v77 offset0:130 offset1:143
	ds_load_2addr_b64 v[4:7], v77 offset0:156 offset1:169
	ds_load_2addr_b64 v[0:3], v77 offset0:182 offset1:195
	ds_load_b64 v[57:58], v77 offset:1664
.LBB0_11:
	s_wait_alu 0xfffe
	s_or_b32 exec_lo, exec_lo, s6
	global_wb scope:SCOPE_SE
	s_wait_dscnt 0x0
	s_barrier_signal -1
	s_barrier_wait -1
	global_inv scope:SCOPE_SE
	s_and_saveexec_b32 s6, vcc_lo
	s_cbranch_execz .LBB0_13
; %bb.12:
	v_dual_add_f32 v201, v58, v35 :: v_dual_add_f32 v200, v3, v41
	v_dual_sub_f32 v84, v34, v57 :: v_dual_add_f32 v199, v1, v43
	s_delay_alu instid0(VALU_DEP_2) | instskip(SKIP_1) | instid1(VALU_DEP_4)
	v_dual_sub_f32 v80, v40, v2 :: v_dual_mul_f32 v101, 0xbf7ba420, v201
	v_dual_sub_f32 v81, v42, v0 :: v_dual_add_f32 v72, v7, v45
	v_dual_sub_f32 v79, v44, v6 :: v_dual_mul_f32 v96, 0x3f6eb680, v200
	s_delay_alu instid0(VALU_DEP_3) | instskip(NEXT) | instid1(VALU_DEP_3)
	v_dual_fmamk_f32 v59, v84, 0x3e3c28d5, v101 :: v_dual_add_f32 v198, v5, v47
	v_dual_mul_f32 v95, 0x3f3d2fb0, v72 :: v_dual_sub_f32 v154, v35, v58
	v_dual_sub_f32 v82, v46, v4 :: v_dual_mul_f32 v97, 0xbf59a7d5, v199
	s_delay_alu instid0(VALU_DEP_3) | instskip(SKIP_1) | instid1(VALU_DEP_4)
	v_dual_fmamk_f32 v60, v80, 0xbeb8f4ab, v96 :: v_dual_add_f32 v59, v33, v59
	v_dual_add_f32 v71, v39, v53 :: v_dual_add_f32 v86, v57, v34
	v_dual_sub_f32 v158, v41, v3 :: v_dual_mul_f32 v105, 0xbe3c28d5, v154
	s_delay_alu instid0(VALU_DEP_3) | instskip(SKIP_1) | instid1(VALU_DEP_3)
	v_dual_add_f32 v59, v60, v59 :: v_dual_mul_f32 v98, 0xbf1a4643, v198
	v_dual_sub_f32 v83, v52, v38 :: v_dual_fmamk_f32 v60, v79, 0xbf2c7751, v95
	v_fmamk_f32 v62, v86, 0xbf7ba420, v105
	v_fmamk_f32 v61, v81, 0x3f06c442, v97
	v_dual_mul_f32 v104, 0x3eb8f4ab, v158 :: v_dual_add_f32 v165, v37, v55
	v_add_f32_e32 v90, v6, v44
	s_delay_alu instid0(VALU_DEP_3) | instskip(SKIP_1) | instid1(VALU_DEP_4)
	v_dual_add_f32 v62, v32, v62 :: v_dual_add_f32 v59, v61, v59
	v_dual_fmamk_f32 v61, v82, 0x3f4c4adb, v98 :: v_dual_sub_f32 v186, v47, v5
	v_dual_add_f32 v87, v2, v40 :: v_dual_mul_f32 v100, 0xbe8c1d8e, v165
	s_delay_alu instid0(VALU_DEP_3) | instskip(SKIP_2) | instid1(VALU_DEP_3)
	v_add_f32_e32 v59, v60, v59
	v_dual_sub_f32 v188, v53, v39 :: v_dual_sub_f32 v85, v54, v36
	v_dual_sub_f32 v88, v48, v50 :: v_dual_sub_f32 v163, v43, v1
	v_add_f32_e32 v59, v61, v59
	v_fmamk_f32 v61, v87, 0x3f6eb680, v104
	v_mul_f32_e32 v99, 0x3ee437d1, v71
	v_dual_sub_f32 v171, v45, v7 :: v_dual_mul_f32 v106, 0xbf4c4adb, v186
	v_dual_add_f32 v177, v51, v49 :: v_dual_mul_f32 v110, 0x3f65296c, v188
	s_delay_alu instid0(VALU_DEP_3) | instskip(NEXT) | instid1(VALU_DEP_3)
	v_dual_fmamk_f32 v60, v83, 0xbf65296c, v99 :: v_dual_add_f32 v89, v0, v42
	v_mul_f32_e32 v103, 0x3f2c7751, v171
	s_delay_alu instid0(VALU_DEP_3) | instskip(NEXT) | instid1(VALU_DEP_3)
	v_mul_f32_e32 v102, 0x3dbcf732, v177
	v_dual_mul_f32 v120, 0xbf59a7d5, v201 :: v_dual_add_f32 v59, v60, v59
	v_add_f32_e32 v60, v61, v62
	v_fmamk_f32 v62, v85, 0x3f763a35, v100
	v_mul_f32_e32 v107, 0xbf06c442, v163
	v_dual_add_f32 v93, v38, v52 :: v_dual_mul_f32 v122, 0x3dbcf732, v199
	v_dual_add_f32 v91, v4, v46 :: v_dual_sub_f32 v196, v55, v37
	s_delay_alu instid0(VALU_DEP_3) | instskip(SKIP_2) | instid1(VALU_DEP_3)
	v_dual_fmamk_f32 v61, v89, 0xbf59a7d5, v107 :: v_dual_add_f32 v92, v36, v54
	v_dual_mul_f32 v123, 0xbf1a4643, v72 :: v_dual_mul_f32 v140, 0xbf1a4643, v201
	v_add_f32_e32 v94, v50, v48
	v_dual_add_f32 v60, v61, v60 :: v_dual_fmamk_f32 v61, v90, 0x3f3d2fb0, v103
	v_dual_add_f32 v59, v62, v59 :: v_dual_fmamk_f32 v62, v93, 0x3ee437d1, v110
	v_fmamk_f32 v64, v88, 0xbf7ee86f, v102
	v_mul_f32_e32 v121, 0x3ee437d1, v200
	s_delay_alu instid0(VALU_DEP_4)
	v_dual_add_f32 v60, v61, v60 :: v_dual_fmamk_f32 v61, v91, 0xbf1a4643, v106
	v_mul_f32_e32 v111, 0xbf763a35, v196
	v_mul_f32_e32 v116, 0xbe8c1d8e, v177
	;; [unrolled: 1-line block ×3, first 2 shown]
	v_dual_mul_f32 v141, 0xbe8c1d8e, v200 :: v_dual_mul_f32 v146, 0xbe8c1d8e, v201
	v_dual_add_f32 v60, v61, v60 :: v_dual_fmamk_f32 v61, v84, 0x3f06c442, v120
	v_fmamk_f32 v65, v92, 0xbe8c1d8e, v111
	v_dual_mul_f32 v112, 0x3f6eb680, v198 :: v_dual_sub_f32 v207, v49, v51
	s_delay_alu instid0(VALU_DEP_3) | instskip(SKIP_2) | instid1(VALU_DEP_3)
	v_dual_add_f32 v62, v62, v60 :: v_dual_add_f32 v61, v33, v61
	v_add_f32_e32 v60, v64, v59
	v_fmamk_f32 v63, v80, 0xbf65296c, v121
	v_dual_mul_f32 v114, 0x3f7ee86f, v207 :: v_dual_add_f32 v59, v65, v62
	v_fmamk_f32 v62, v79, 0xbf4c4adb, v123
	s_delay_alu instid0(VALU_DEP_3)
	v_dual_mul_f32 v108, 0xbf7ba420, v71 :: v_dual_add_f32 v61, v63, v61
	v_fmamk_f32 v63, v81, 0x3f7ee86f, v122
	v_mul_f32_e32 v132, 0x3f65296c, v158
	v_mul_f32_e32 v167, 0x3f2c7751, v163
	;; [unrolled: 1-line block ×4, first 2 shown]
	v_add_f32_e32 v61, v63, v61
	v_mul_f32_e32 v131, 0xbf06c442, v154
	v_mul_f32_e32 v138, 0x3f3d2fb0, v199
	v_dual_mul_f32 v125, 0x3f6eb680, v199 :: v_dual_mul_f32 v136, 0x3f6eb680, v165
	s_delay_alu instid0(VALU_DEP_4)
	v_add_f32_e32 v61, v62, v61
	v_fmamk_f32 v62, v82, 0x3eb8f4ab, v112
	v_fmamk_f32 v67, v92, 0x3f3d2fb0, v117
	;; [unrolled: 1-line block ×4, first 2 shown]
	v_mul_f32_e32 v119, 0x3f4c4adb, v171
	v_dual_add_f32 v61, v62, v61 :: v_dual_fmamk_f32 v62, v83, 0x3e3c28d5, v108
	v_mul_f32_e32 v118, 0xbf7ee86f, v163
	v_mul_f32_e32 v133, 0xbf7ba420, v165
	;; [unrolled: 1-line block ×4, first 2 shown]
	v_dual_add_f32 v61, v62, v61 :: v_dual_fmamk_f32 v62, v85, 0xbf2c7751, v109
	s_delay_alu instid0(VALU_DEP_4)
	v_fmamk_f32 v68, v85, 0x3e3c28d5, v133
	v_mul_f32_e32 v113, 0xbeb8f4ab, v186
	v_mul_f32_e32 v126, 0xbf59a7d5, v72
	;; [unrolled: 1-line block ×3, first 2 shown]
	v_add_f32_e32 v61, v62, v61
	v_fmamk_f32 v63, v94, 0x3dbcf732, v114
	v_fmamk_f32 v64, v86, 0xbf59a7d5, v131
	v_dual_mul_f32 v149, 0xbeb8f4ab, v163 :: v_dual_mul_f32 v152, 0xbeb8f4ab, v196
	v_dual_mul_f32 v137, 0x3ee437d1, v177 :: v_dual_mul_f32 v160, 0x3ee437d1, v198
	s_delay_alu instid0(VALU_DEP_3)
	v_dual_add_f32 v59, v63, v59 :: v_dual_add_f32 v64, v32, v64
	v_mul_f32_e32 v128, 0xbf7ba420, v198
	v_mul_f32_e32 v134, 0xbf59a7d5, v200
	;; [unrolled: 1-line block ×4, first 2 shown]
	v_add_f32_e32 v63, v65, v64
	v_fmamk_f32 v64, v89, 0x3dbcf732, v118
	v_fmamk_f32 v65, v84, 0x3f4c4adb, v140
	v_mul_f32_e32 v161, 0xbf1a4643, v165
	v_mul_f32_e32 v218, 0xbf2c7751, v154
	v_dual_mul_f32 v143, 0xbe3c28d5, v196 :: v_dual_mul_f32 v172, 0xbe3c28d5, v186
	v_dual_add_f32 v62, v64, v63 :: v_dual_fmamk_f32 v63, v90, 0xbf1a4643, v119
	v_dual_add_f32 v65, v33, v65 :: v_dual_fmamk_f32 v64, v88, 0x3f763a35, v116
	v_fmamk_f32 v144, v85, 0xbf4c4adb, v161
	v_dual_mul_f32 v209, 0x3f3d2fb0, v201 :: v_dual_fmamk_f32 v204, v86, 0x3f3d2fb0, v218
	s_delay_alu instid0(VALU_DEP_4)
	v_add_f32_e32 v62, v63, v62
	v_fmamk_f32 v63, v91, 0x3f6eb680, v113
	v_mul_f32_e32 v184, 0xbe8c1d8e, v199
	v_mul_f32_e32 v219, 0xbf7ee86f, v158
	;; [unrolled: 1-line block ×3, first 2 shown]
	v_dual_mul_f32 v193, 0x3ee437d1, v201 :: v_dual_add_f32 v204, v32, v204
	v_dual_add_f32 v62, v63, v62 :: v_dual_fmamk_f32 v63, v93, 0xbf7ba420, v115
	v_mul_f32_e32 v145, 0x3f65296c, v207
	v_mul_f32_e32 v169, 0xbf1a4643, v200
	v_fmamk_f32 v142, v92, 0x3f6eb680, v152
	v_fmamk_f32 v211, v87, 0x3dbcf732, v219
	v_add_f32_e32 v63, v63, v62
	v_mul_f32_e32 v189, 0xbf7ee86f, v154
	v_mul_f32_e32 v135, 0x3dbcf732, v71
	s_delay_alu instid0(VALU_DEP_4) | instskip(NEXT) | instid1(VALU_DEP_4)
	v_dual_fmamk_f32 v151, v80, 0x3f4c4adb, v169 :: v_dual_add_f32 v204, v211, v204
	v_add_f32_e32 v63, v67, v63
	v_dual_add_f32 v65, v66, v65 :: v_dual_fmamk_f32 v66, v81, 0x3eb8f4ab, v125
	v_add_f32_e32 v62, v64, v61
	v_fmamk_f32 v64, v79, 0x3f06c442, v126
	v_dual_mul_f32 v153, 0xbf65296c, v171 :: v_dual_mul_f32 v192, 0xbf65296c, v186
	s_delay_alu instid0(VALU_DEP_4) | instskip(SKIP_3) | instid1(VALU_DEP_4)
	v_dual_add_f32 v61, v66, v65 :: v_dual_mul_f32 v124, 0xbf763a35, v207
	v_mul_f32_e32 v208, 0xbf4c4adb, v158
	v_mul_f32_e32 v130, 0xbf1a4643, v177
	;; [unrolled: 1-line block ×3, first 2 shown]
	v_add_f32_e32 v61, v64, v61
	v_fmamk_f32 v65, v94, 0xbe8c1d8e, v124
	v_fmamk_f32 v64, v82, 0xbf7ee86f, v129
	;; [unrolled: 1-line block ×3, first 2 shown]
	v_mul_f32_e32 v164, 0xbf763a35, v154
	v_fmamk_f32 v157, v87, 0xbf1a4643, v208
	v_mul_f32_e32 v183, 0xbf7ba420, v200
	v_dual_add_f32 v61, v64, v61 :: v_dual_fmamk_f32 v64, v83, 0x3f2c7751, v139
	v_dual_add_f32 v66, v32, v66 :: v_dual_mul_f32 v181, 0x3dbcf732, v165
	v_fmamk_f32 v202, v92, 0x3dbcf732, v217
	v_dual_mul_f32 v215, 0x3f2c7751, v186 :: v_dual_fmamk_f32 v170, v84, 0x3f2c7751, v209
	s_delay_alu instid0(VALU_DEP_4)
	v_dual_add_f32 v64, v64, v61 :: v_dual_add_f32 v61, v65, v63
	v_fmamk_f32 v65, v89, 0x3f6eb680, v149
	v_mul_f32_e32 v148, 0x3f763a35, v158
	v_mul_f32_e32 v182, 0x3dbcf732, v201
	v_dual_mul_f32 v173, 0x3f7ee86f, v188 :: v_dual_add_f32 v170, v33, v170
	v_mul_f32_e32 v159, 0x3f6eb680, v72
	s_delay_alu instid0(VALU_DEP_4) | instskip(SKIP_3) | instid1(VALU_DEP_4)
	v_fmamk_f32 v67, v87, 0xbe8c1d8e, v148
	v_mul_f32_e32 v191, 0x3f763a35, v163
	v_mul_f32_e32 v185, 0x3f6eb680, v71
	;; [unrolled: 1-line block ×3, first 2 shown]
	v_dual_mul_f32 v220, 0xbf4c4adb, v163 :: v_dual_add_f32 v63, v67, v66
	v_fmamk_f32 v67, v84, 0x3f763a35, v146
	v_add_f32_e32 v64, v68, v64
	v_fmamk_f32 v66, v88, 0xbf65296c, v137
	s_delay_alu instid0(VALU_DEP_4) | instskip(NEXT) | instid1(VALU_DEP_4)
	v_dual_fmamk_f32 v68, v80, 0xbf06c442, v134 :: v_dual_add_f32 v63, v65, v63
	v_add_f32_e32 v67, v33, v67
	s_delay_alu instid0(VALU_DEP_3) | instskip(SKIP_2) | instid1(VALU_DEP_4)
	v_dual_fmamk_f32 v211, v89, 0xbf1a4643, v220 :: v_dual_add_f32 v64, v66, v64
	v_mul_f32_e32 v175, 0xbf7ba420, v199
	v_mul_f32_e32 v205, 0xbf65296c, v154
	v_dual_add_f32 v67, v68, v67 :: v_dual_fmamk_f32 v68, v81, 0xbf2c7751, v138
	v_dual_add_f32 v35, v35, v33 :: v_dual_mul_f32 v154, 0xbeb8f4ab, v154
	v_mul_f32_e32 v213, 0x3f763a35, v171
	v_fmac_f32_e32 v99, 0x3f65296c, v83
	s_delay_alu instid0(VALU_DEP_4) | instskip(SKIP_4) | instid1(VALU_DEP_4)
	v_dual_add_f32 v66, v68, v67 :: v_dual_fmamk_f32 v67, v79, 0x3f65296c, v127
	v_mul_f32_e32 v150, 0xbf06c442, v171
	v_dual_fmamk_f32 v70, v80, 0x3e3c28d5, v183 :: v_dual_add_f32 v35, v41, v35
	v_mul_f32_e32 v41, 0xbf1a4643, v71
	v_fmac_f32_e32 v101, 0xbe3c28d5, v84
	v_fmamk_f32 v65, v90, 0xbf59a7d5, v150
	v_mul_f32_e32 v162, 0x3f7ee86f, v186
	v_fmac_f32_e32 v97, 0xbf06c442, v81
	v_fmac_f32_e32 v95, 0x3f2c7751, v79
	;; [unrolled: 1-line block ×3, first 2 shown]
	v_add_f32_e32 v63, v65, v63
	v_dual_fmamk_f32 v65, v91, 0x3dbcf732, v162 :: v_dual_mul_f32 v210, 0x3dbcf732, v200
	v_mul_f32_e32 v194, 0xbf1a4643, v199
	v_add_f32_e32 v34, v34, v32
	s_delay_alu instid0(VALU_DEP_3) | instskip(SKIP_4) | instid1(VALU_DEP_4)
	v_dual_mul_f32 v176, 0xbe8c1d8e, v72 :: v_dual_add_f32 v63, v65, v63
	v_fmamk_f32 v65, v93, 0x3f3d2fb0, v155
	v_fmamk_f32 v195, v80, 0x3f7ee86f, v210
	v_mul_f32_e32 v179, 0xbf59a7d5, v71
	v_fmamk_f32 v197, v81, 0x3f4c4adb, v194
	v_dual_mul_f32 v168, 0xbf06c442, v188 :: v_dual_add_f32 v63, v65, v63
	s_delay_alu instid0(VALU_DEP_4) | instskip(SKIP_3) | instid1(VALU_DEP_4)
	v_dual_fmamk_f32 v65, v92, 0xbf7ba420, v143 :: v_dual_add_f32 v170, v195, v170
	v_mul_f32_e32 v216, 0xbeb8f4ab, v188
	v_mul_f32_e32 v174, 0x3f4c4adb, v196
	;; [unrolled: 1-line block ×3, first 2 shown]
	v_add_f32_e32 v63, v65, v63
	v_dual_add_f32 v65, v67, v66 :: v_dual_fmamk_f32 v66, v82, 0x3e3c28d5, v128
	v_fmamk_f32 v67, v94, 0x3ee437d1, v145
	v_fmamk_f32 v68, v86, 0xbe8c1d8e, v164
	v_mul_f32_e32 v166, 0x3f06c442, v158
	s_delay_alu instid0(VALU_DEP_4) | instskip(NEXT) | instid1(VALU_DEP_3)
	v_dual_mul_f32 v180, 0x3f3d2fb0, v198 :: v_dual_add_f32 v65, v66, v65
	v_dual_add_f32 v63, v67, v63 :: v_dual_add_f32 v68, v32, v68
	s_delay_alu instid0(VALU_DEP_3)
	v_fmamk_f32 v69, v87, 0xbf59a7d5, v166
	v_fmamk_f32 v66, v83, 0xbf7ee86f, v135
	v_add_f32_e32 v34, v40, v34
	v_fmamk_f32 v40, v83, 0x3f4c4adb, v41
	v_fmac_f32_e32 v120, 0xbf06c442, v84
	v_add_f32_e32 v67, v69, v68
	v_dual_add_f32 v65, v66, v65 :: v_dual_fmamk_f32 v66, v85, 0x3eb8f4ab, v136
	v_fmamk_f32 v68, v89, 0x3f3d2fb0, v167
	v_dual_fmamk_f32 v69, v84, 0x3f7ee86f, v182 :: v_dual_add_f32 v34, v42, v34
	v_fmac_f32_e32 v139, 0xbf2c7751, v83
	s_delay_alu instid0(VALU_DEP_3) | instskip(SKIP_1) | instid1(VALU_DEP_4)
	v_dual_add_f32 v65, v66, v65 :: v_dual_add_f32 v66, v68, v67
	v_fmamk_f32 v67, v90, 0x3ee437d1, v153
	v_dual_add_f32 v69, v33, v69 :: v_dual_add_f32 v34, v44, v34
	v_fmac_f32_e32 v98, 0xbf4c4adb, v82
	v_fmac_f32_e32 v100, 0xbf763a35, v85
	s_delay_alu instid0(VALU_DEP_4) | instskip(SKIP_3) | instid1(VALU_DEP_3)
	v_add_f32_e32 v66, v67, v66
	v_fmamk_f32 v67, v91, 0xbf7ba420, v172
	v_dual_add_f32 v69, v70, v69 :: v_dual_fmamk_f32 v70, v81, 0xbf763a35, v184
	v_dual_add_f32 v34, v46, v34 :: v_dual_mul_f32 v195, 0xbf7ba420, v72
	v_dual_add_f32 v66, v67, v66 :: v_dual_fmamk_f32 v67, v93, 0x3dbcf732, v173
	v_mul_f32_e32 v46, 0xbf65296c, v163
	s_delay_alu instid0(VALU_DEP_3) | instskip(NEXT) | instid1(VALU_DEP_3)
	v_dual_add_f32 v34, v52, v34 :: v_dual_add_f32 v35, v43, v35
	v_dual_mul_f32 v52, 0xbf7ee86f, v171 :: v_dual_add_f32 v67, v67, v66
	v_fmamk_f32 v68, v88, 0x3f4c4adb, v130
	s_delay_alu instid0(VALU_DEP_3) | instskip(SKIP_1) | instid1(VALU_DEP_3)
	v_dual_add_f32 v34, v54, v34 :: v_dual_add_f32 v35, v45, v35
	v_fma_f32 v54, 0xbf1a4643, v92, -v174
	v_dual_add_f32 v67, v142, v67 :: v_dual_add_f32 v66, v68, v65
	v_dual_add_f32 v65, v70, v69 :: v_dual_fmamk_f32 v68, v79, 0xbeb8f4ab, v159
	v_mul_f32_e32 v156, 0xbf4c4adb, v207
	v_fmamk_f32 v70, v86, 0x3dbcf732, v189
	v_add_f32_e32 v34, v48, v34
	s_delay_alu instid0(VALU_DEP_4) | instskip(SKIP_1) | instid1(VALU_DEP_4)
	v_dual_mul_f32 v48, 0xbf4c4adb, v188 :: v_dual_add_f32 v65, v68, v65
	v_fmamk_f32 v68, v82, 0x3f65296c, v160
	v_dual_fmamk_f32 v69, v94, 0xbf1a4643, v156 :: v_dual_add_f32 v70, v32, v70
	s_delay_alu instid0(VALU_DEP_4) | instskip(NEXT) | instid1(VALU_DEP_3)
	v_dual_add_f32 v34, v50, v34 :: v_dual_fmac_f32 v135, 0x3f7ee86f, v83
	v_dual_add_f32 v65, v68, v65 :: v_dual_fmamk_f32 v68, v83, 0x3f06c442, v179
	v_fmamk_f32 v142, v87, 0xbf7ba420, v190
	s_delay_alu instid0(VALU_DEP_3)
	v_add_f32_e32 v34, v36, v34
	v_fmamk_f32 v36, v93, 0xbf1a4643, v48
	v_fmac_f32_e32 v125, 0xbeb8f4ab, v81
	v_dual_add_f32 v68, v68, v65 :: v_dual_add_f32 v65, v69, v67
	v_add_f32_e32 v67, v142, v70
	v_fmamk_f32 v69, v89, 0xbe8c1d8e, v191
	v_mul_f32_e32 v142, 0x3f3d2fb0, v177
	s_delay_alu instid0(VALU_DEP_4) | instskip(SKIP_1) | instid1(VALU_DEP_4)
	v_add_f32_e32 v68, v144, v68
	v_fmamk_f32 v144, v84, 0x3f65296c, v193
	v_dual_add_f32 v34, v38, v34 :: v_dual_add_f32 v67, v69, v67
	v_fmamk_f32 v69, v90, 0x3f6eb680, v187
	v_fmamk_f32 v70, v88, 0xbf2c7751, v142
	s_delay_alu instid0(VALU_DEP_4) | instskip(NEXT) | instid1(VALU_DEP_4)
	v_add_f32_e32 v144, v33, v144
	v_add_f32_e32 v4, v4, v34
	v_fma_f32 v38, 0x3dbcf732, v91, -v162
	v_add_f32_e32 v67, v69, v67
	v_fmamk_f32 v69, v91, 0x3ee437d1, v192
	v_dual_add_f32 v144, v151, v144 :: v_dual_fmamk_f32 v151, v81, 0xbe3c28d5, v175
	v_add_f32_e32 v68, v70, v68
	s_delay_alu instid0(VALU_DEP_3) | instskip(NEXT) | instid1(VALU_DEP_3)
	v_dual_add_f32 v4, v6, v4 :: v_dual_add_f32 v67, v69, v67
	v_dual_fmamk_f32 v69, v93, 0xbf59a7d5, v168 :: v_dual_add_f32 v70, v151, v144
	v_fmamk_f32 v144, v79, 0xbf763a35, v176
	v_mul_f32_e32 v178, 0x3f2c7751, v207
	v_fmamk_f32 v151, v86, 0x3ee437d1, v205
	s_delay_alu instid0(VALU_DEP_4) | instskip(SKIP_2) | instid1(VALU_DEP_4)
	v_add_f32_e32 v67, v69, v67
	v_fmamk_f32 v69, v92, 0xbf1a4643, v174
	v_dual_add_f32 v0, v0, v4 :: v_dual_mul_f32 v45, 0xbf2c7751, v158
	v_add_f32_e32 v151, v32, v151
	v_fma_f32 v6, 0xbf7ba420, v86, -v105
	s_delay_alu instid0(VALU_DEP_4)
	v_add_f32_e32 v67, v69, v67
	v_dual_add_f32 v69, v144, v70 :: v_dual_fmamk_f32 v70, v82, 0xbf2c7751, v180
	v_fmamk_f32 v144, v94, 0x3f3d2fb0, v178
	v_add_f32_e32 v0, v2, v0
	v_fmamk_f32 v44, v87, 0x3f3d2fb0, v45
	v_add_f32_e32 v35, v47, v35
	v_dual_add_f32 v69, v70, v69 :: v_dual_fmamk_f32 v70, v83, 0x3eb8f4ab, v185
	v_mul_f32_e32 v212, 0x3e3c28d5, v163
	v_add_f32_e32 v67, v144, v67
	v_dual_add_f32 v144, v157, v151 :: v_dual_mul_f32 v151, 0xbf59a7d5, v177
	s_delay_alu instid0(VALU_DEP_4) | instskip(NEXT) | instid1(VALU_DEP_4)
	v_dual_add_f32 v69, v70, v69 :: v_dual_fmamk_f32 v70, v85, 0x3f7ee86f, v181
	v_fmamk_f32 v157, v89, 0xbf7ba420, v212
	v_add_f32_e32 v35, v53, v35
	v_dual_fmamk_f32 v43, v86, 0x3f6eb680, v154 :: v_dual_add_f32 v0, v57, v0
	s_delay_alu instid0(VALU_DEP_3) | instskip(SKIP_4) | instid1(VALU_DEP_4)
	v_dual_add_f32 v69, v70, v69 :: v_dual_add_f32 v70, v157, v144
	v_fmamk_f32 v144, v90, 0xbe8c1d8e, v213
	v_fmamk_f32 v157, v88, 0x3f06c442, v151
	v_add_f32_e32 v35, v55, v35
	v_fmac_f32_e32 v137, 0x3f65296c, v88
	v_dual_fmac_f32 v181, 0xbf7ee86f, v85 :: v_dual_add_f32 v70, v144, v70
	s_delay_alu instid0(VALU_DEP_3) | instskip(SKIP_3) | instid1(VALU_DEP_4)
	v_dual_fmamk_f32 v144, v91, 0x3f3d2fb0, v215 :: v_dual_add_f32 v35, v49, v35
	v_mul_f32_e32 v49, 0xbf763a35, v186
	v_add_f32_e32 v43, v32, v43
	v_fma_f32 v45, 0x3f3d2fb0, v87, -v45
	v_add_f32_e32 v70, v144, v70
	v_dual_fmamk_f32 v144, v93, 0x3f6eb680, v216 :: v_dual_add_f32 v35, v51, v35
	s_delay_alu instid0(VALU_DEP_4) | instskip(SKIP_1) | instid1(VALU_DEP_3)
	v_dual_add_f32 v43, v44, v43 :: v_dual_fmamk_f32 v44, v89, 0x3ee437d1, v46
	v_fma_f32 v51, 0xbf7ba420, v87, -v190
	v_add_f32_e32 v144, v144, v70
	v_add_f32_e32 v70, v157, v69
	;; [unrolled: 1-line block ×3, first 2 shown]
	v_fmamk_f32 v157, v79, 0x3e3c28d5, v195
	s_delay_alu instid0(VALU_DEP_4) | instskip(SKIP_2) | instid1(VALU_DEP_4)
	v_dual_mul_f32 v197, 0xbf59a7d5, v198 :: v_dual_add_f32 v144, v202, v144
	v_mul_f32_e32 v202, 0xbf06c442, v207
	v_add_f32_e32 v43, v44, v43
	v_add_f32_e32 v69, v157, v69
	s_delay_alu instid0(VALU_DEP_4)
	v_fmamk_f32 v157, v82, 0xbf06c442, v197
	v_fmamk_f32 v44, v90, 0x3dbcf732, v52
	v_fmamk_f32 v203, v94, 0xbf59a7d5, v202
	v_mul_f32_e32 v170, 0xbe8c1d8e, v71
	v_dual_add_f32 v35, v37, v35 :: v_dual_fmac_f32 v112, 0xbeb8f4ab, v82
	v_add_f32_e32 v69, v157, v69
	v_mul_f32_e32 v157, 0x3ee437d1, v165
	s_delay_alu instid0(VALU_DEP_4) | instskip(SKIP_2) | instid1(VALU_DEP_3)
	v_dual_fmamk_f32 v206, v83, 0xbf763a35, v170 :: v_dual_add_f32 v43, v44, v43
	v_fmac_f32_e32 v102, 0x3f7ee86f, v88
	v_fmamk_f32 v44, v91, 0xbe8c1d8e, v49
	v_dual_fmamk_f32 v221, v85, 0xbf65296c, v157 :: v_dual_add_f32 v206, v206, v69
	v_dual_add_f32 v69, v203, v144 :: v_dual_mul_f32 v144, 0x3f6eb680, v177
	v_mul_f32_e32 v203, 0x3f6eb680, v201
	s_delay_alu instid0(VALU_DEP_4) | instskip(NEXT) | instid1(VALU_DEP_4)
	v_add_f32_e32 v43, v44, v43
	v_dual_add_f32 v221, v221, v206 :: v_dual_add_f32 v206, v211, v204
	v_fmamk_f32 v211, v90, 0xbf7ba420, v214
	v_fmamk_f32 v222, v88, 0xbeb8f4ab, v144
	;; [unrolled: 1-line block ×3, first 2 shown]
	v_dual_mul_f32 v201, 0x3f06c442, v186 :: v_dual_add_f32 v36, v36, v43
	s_delay_alu instid0(VALU_DEP_4) | instskip(SKIP_1) | instid1(VALU_DEP_4)
	v_dual_add_f32 v211, v211, v206 :: v_dual_mul_f32 v206, 0x3ee437d1, v199
	v_mul_f32_e32 v199, 0x3f65296c, v196
	v_dual_add_f32 v223, v33, v223 :: v_dual_mul_f32 v204, 0x3f3d2fb0, v200
	s_delay_alu instid0(VALU_DEP_4) | instskip(SKIP_2) | instid1(VALU_DEP_4)
	v_fmamk_f32 v224, v91, 0xbf59a7d5, v201
	v_dual_mul_f32 v200, 0x3f763a35, v188 :: v_dual_add_f32 v39, v39, v35
	v_fmac_f32_e32 v140, 0xbf4c4adb, v84
	v_fmamk_f32 v225, v80, 0x3f2c7751, v204
	s_delay_alu instid0(VALU_DEP_4) | instskip(NEXT) | instid1(VALU_DEP_4)
	v_dual_add_f32 v224, v224, v211 :: v_dual_mul_f32 v211, 0x3dbcf732, v72
	v_dual_add_f32 v4, v32, v6 :: v_dual_add_f32 v5, v5, v39
	s_delay_alu instid0(VALU_DEP_3) | instskip(SKIP_2) | instid1(VALU_DEP_4)
	v_dual_fmac_f32 v116, 0xbf763a35, v88 :: v_dual_add_f32 v223, v225, v223
	v_dual_fmamk_f32 v225, v81, 0x3f65296c, v206 :: v_dual_add_f32 v72, v222, v221
	v_fmamk_f32 v222, v92, 0x3ee437d1, v199
	v_dual_mul_f32 v198, 0xbe8c1d8e, v198 :: v_dual_add_f32 v5, v7, v5
	v_fmac_f32_e32 v108, 0xbe3c28d5, v83
	s_delay_alu instid0(VALU_DEP_4) | instskip(SKIP_1) | instid1(VALU_DEP_4)
	v_add_f32_e32 v223, v225, v223
	v_fmamk_f32 v226, v93, 0xbe8c1d8e, v200
	v_dual_fmac_f32 v96, 0x3eb8f4ab, v80 :: v_dual_add_f32 v1, v1, v5
	v_dual_add_f32 v5, v33, v101 :: v_dual_mul_f32 v50, 0xbf06c442, v196
	s_delay_alu instid0(VALU_DEP_3) | instskip(NEXT) | instid1(VALU_DEP_3)
	v_dual_add_f32 v221, v226, v224 :: v_dual_fmamk_f32 v224, v79, 0x3f7ee86f, v211
	v_add_f32_e32 v1, v3, v1
	s_delay_alu instid0(VALU_DEP_3) | instskip(SKIP_1) | instid1(VALU_DEP_4)
	v_add_f32_e32 v3, v96, v5
	v_fma_f32 v5, 0x3f6eb680, v87, -v104
	v_dual_add_f32 v222, v222, v221 :: v_dual_mul_f32 v221, 0x3eb8f4ab, v207
	v_dual_add_f32 v223, v224, v223 :: v_dual_fmamk_f32 v224, v82, 0x3f763a35, v198
	s_delay_alu instid0(VALU_DEP_4) | instskip(NEXT) | instid1(VALU_DEP_4)
	v_add_f32_e32 v2, v97, v3
	v_add_f32_e32 v3, v5, v4
	s_delay_alu instid0(VALU_DEP_4) | instskip(SKIP_1) | instid1(VALU_DEP_4)
	v_fmamk_f32 v71, v94, 0x3f6eb680, v221
	v_fma_f32 v4, 0xbf59a7d5, v89, -v107
	v_dual_add_f32 v223, v224, v223 :: v_dual_add_f32 v2, v95, v2
	v_fmac_f32_e32 v146, 0xbf763a35, v84
	s_delay_alu instid0(VALU_DEP_3) | instskip(NEXT) | instid1(VALU_DEP_3)
	v_dual_fmac_f32 v134, 0x3f06c442, v80 :: v_dual_add_f32 v3, v4, v3
	v_add_f32_e32 v42, v40, v223
	v_mul_f32_e32 v40, 0xbf59a7d5, v165
	v_fma_f32 v4, 0x3f3d2fb0, v90, -v103
	v_dual_add_f32 v2, v98, v2 :: v_dual_add_f32 v5, v33, v120
	v_fmac_f32_e32 v161, 0x3f4c4adb, v85
	s_delay_alu instid0(VALU_DEP_4) | instskip(NEXT) | instid1(VALU_DEP_4)
	v_fmamk_f32 v47, v85, 0x3f06c442, v40
	v_add_f32_e32 v3, v4, v3
	v_fma_f32 v4, 0xbf1a4643, v91, -v106
	v_dual_add_f32 v2, v99, v2 :: v_dual_fmac_f32 v133, 0xbe3c28d5, v85
	v_fmac_f32_e32 v121, 0x3f65296c, v80
	v_dual_add_f32 v47, v47, v42 :: v_dual_fmac_f32 v122, 0xbf7ee86f, v81
	s_delay_alu instid0(VALU_DEP_4) | instskip(SKIP_1) | instid1(VALU_DEP_4)
	v_add_f32_e32 v3, v4, v3
	v_fma_f32 v4, 0x3ee437d1, v93, -v110
	v_dual_add_f32 v5, v121, v5 :: v_dual_add_f32 v2, v100, v2
	v_mul_f32_e32 v42, 0xbf7ba420, v177
	v_fmac_f32_e32 v138, 0x3f2c7751, v81
	v_fmac_f32_e32 v123, 0x3f4c4adb, v79
	s_delay_alu instid0(VALU_DEP_4) | instskip(SKIP_3) | instid1(VALU_DEP_4)
	v_dual_add_f32 v5, v122, v5 :: v_dual_add_f32 v4, v4, v3
	v_add_f32_e32 v3, v102, v2
	v_fma_f32 v6, 0xbe8c1d8e, v92, -v111
	v_fmamk_f32 v37, v88, 0x3e3c28d5, v42
	v_dual_add_f32 v5, v123, v5 :: v_dual_fmac_f32 v182, 0xbf7ee86f, v84
	v_fmac_f32_e32 v169, 0xbf4c4adb, v80
	s_delay_alu instid0(VALU_DEP_4) | instskip(NEXT) | instid1(VALU_DEP_3)
	v_dual_add_f32 v4, v6, v4 :: v_dual_fmac_f32 v127, 0xbf65296c, v79
	v_add_f32_e32 v5, v112, v5
	v_add_f32_e32 v35, v37, v47
	v_mul_f32_e32 v47, 0xbe3c28d5, v207
	v_fmac_f32_e32 v109, 0x3f2c7751, v85
	v_fmamk_f32 v37, v92, 0xbf59a7d5, v50
	v_add_f32_e32 v71, v71, v222
	v_fma_f32 v2, 0xbf59a7d5, v86, -v131
	v_fmamk_f32 v34, v94, 0xbf7ba420, v47
	v_fma_f32 v6, 0x3dbcf732, v94, -v114
	v_dual_add_f32 v7, v37, v36 :: v_dual_fmac_f32 v126, 0xbf06c442, v79
	v_fma_f32 v36, 0x3ee437d1, v87, -v132
	v_fmac_f32_e32 v184, 0x3f763a35, v81
	v_fmac_f32_e32 v128, 0xbe3c28d5, v82
	s_delay_alu instid0(VALU_DEP_4) | instskip(SKIP_3) | instid1(VALU_DEP_4)
	v_dual_add_f32 v34, v34, v7 :: v_dual_add_f32 v7, v32, v2
	v_add_f32_e32 v2, v6, v4
	v_add_f32_e32 v4, v108, v5
	v_fma_f32 v6, 0x3dbcf732, v89, -v118
	v_dual_fmac_f32 v136, 0xbeb8f4ab, v85 :: v_dual_add_f32 v5, v36, v7
	v_add_f32_e32 v7, v33, v140
	s_delay_alu instid0(VALU_DEP_4) | instskip(SKIP_2) | instid1(VALU_DEP_4)
	v_add_f32_e32 v4, v109, v4
	v_fma_f32 v36, 0xbf1a4643, v90, -v119
	v_fma_f32 v37, 0xbe8c1d8e, v87, -v148
	v_dual_add_f32 v6, v6, v5 :: v_dual_add_f32 v7, v141, v7
	s_delay_alu instid0(VALU_DEP_4) | instskip(SKIP_1) | instid1(VALU_DEP_3)
	v_dual_add_f32 v5, v116, v4 :: v_dual_fmac_f32 v160, 0xbf65296c, v82
	v_fma_f32 v4, 0xbf1a4643, v86, -v147
	v_add_f32_e32 v6, v36, v6
	v_fma_f32 v36, 0x3f6eb680, v91, -v113
	v_add_f32_e32 v7, v125, v7
	s_delay_alu instid0(VALU_DEP_4) | instskip(SKIP_1) | instid1(VALU_DEP_4)
	v_dual_fmac_f32 v129, 0x3f7ee86f, v82 :: v_dual_add_f32 v4, v32, v4
	v_fmac_f32_e32 v130, 0xbf4c4adb, v88
	v_add_f32_e32 v6, v36, v6
	v_fma_f32 v36, 0xbf7ba420, v93, -v115
	s_delay_alu instid0(VALU_DEP_4) | instskip(SKIP_2) | instid1(VALU_DEP_4)
	v_dual_add_f32 v7, v126, v7 :: v_dual_add_f32 v4, v37, v4
	v_fma_f32 v37, 0x3f6eb680, v89, -v149
	v_fma_f32 v44, 0x3f6eb680, v92, -v152
	v_add_f32_e32 v6, v36, v6
	v_fma_f32 v36, 0x3f3d2fb0, v92, -v117
	v_add_f32_e32 v7, v129, v7
	v_dual_add_f32 v1, v58, v1 :: v_dual_add_f32 v4, v37, v4
	v_fma_f32 v37, 0xbf59a7d5, v90, -v150
	s_delay_alu instid0(VALU_DEP_4)
	v_add_f32_e32 v6, v36, v6
	v_fma_f32 v36, 0xbe8c1d8e, v94, -v124
	v_fmac_f32_e32 v157, 0x3f65296c, v85
	v_fmac_f32_e32 v193, 0xbf65296c, v84
	v_add_f32_e32 v7, v139, v7
	v_dual_add_f32 v37, v37, v4 :: v_dual_fmac_f32 v176, 0x3f763a35, v79
	v_add_f32_e32 v4, v36, v6
	v_fma_f32 v39, 0xbf59a7d5, v87, -v166
	s_delay_alu instid0(VALU_DEP_4) | instskip(NEXT) | instid1(VALU_DEP_4)
	v_add_f32_e32 v6, v133, v7
	v_add_f32_e32 v36, v38, v37
	v_fma_f32 v37, 0x3f3d2fb0, v93, -v155
	v_add_f32_e32 v38, v33, v146
	v_fma_f32 v43, 0x3f3d2fb0, v89, -v167
	v_dual_add_f32 v7, v137, v6 :: v_dual_fmac_f32 v142, 0x3f2c7751, v88
	v_fma_f32 v6, 0xbe8c1d8e, v86, -v164
	v_add_f32_e32 v36, v37, v36
	v_fma_f32 v37, 0xbf7ba420, v92, -v143
	v_dual_add_f32 v38, v134, v38 :: v_dual_fmac_f32 v175, 0x3e3c28d5, v81
	s_delay_alu instid0(VALU_DEP_4) | instskip(SKIP_1) | instid1(VALU_DEP_4)
	v_add_f32_e32 v6, v32, v6
	v_fma_f32 v47, 0xbf7ba420, v94, -v47
	v_add_f32_e32 v36, v37, v36
	v_fma_f32 v37, 0x3ee437d1, v94, -v145
	v_add_f32_e32 v38, v138, v38
	v_add_f32_e32 v39, v39, v6
	v_fmac_f32_e32 v209, 0xbf2c7751, v84
	v_fmac_f32_e32 v183, 0xbe3c28d5, v80
	v_add_f32_e32 v6, v37, v36
	v_add_f32_e32 v36, v127, v38
	v_dual_add_f32 v37, v43, v39 :: v_dual_fmac_f32 v180, 0x3f2c7751, v82
	v_add_f32_e32 v39, v33, v182
	v_fma_f32 v38, 0x3ee437d1, v90, -v153
	s_delay_alu instid0(VALU_DEP_4)
	v_add_f32_e32 v36, v128, v36
	v_fma_f32 v43, 0x3dbcf732, v86, -v189
	v_fmac_f32_e32 v185, 0xbeb8f4ab, v83
	v_dual_add_f32 v39, v183, v39 :: v_dual_fmac_f32 v210, 0xbf7ee86f, v80
	v_add_f32_e32 v37, v38, v37
	v_fma_f32 v38, 0xbf7ba420, v91, -v172
	s_delay_alu instid0(VALU_DEP_3) | instskip(SKIP_2) | instid1(VALU_DEP_4)
	v_dual_add_f32 v36, v135, v36 :: v_dual_add_f32 v39, v184, v39
	v_fmac_f32_e32 v151, 0xbf06c442, v88
	v_fmac_f32_e32 v159, 0x3eb8f4ab, v79
	v_add_f32_e32 v37, v38, v37
	v_fma_f32 v38, 0x3dbcf732, v93, -v173
	v_add_f32_e32 v36, v136, v36
	v_dual_add_f32 v43, v32, v43 :: v_dual_fmac_f32 v204, 0xbf2c7751, v80
	v_dual_add_f32 v39, v159, v39 :: v_dual_fmac_f32 v194, 0xbf4c4adb, v81
	s_delay_alu instid0(VALU_DEP_4) | instskip(NEXT) | instid1(VALU_DEP_4)
	v_add_f32_e32 v38, v38, v37
	v_dual_add_f32 v37, v130, v36 :: v_dual_fmac_f32 v170, 0x3f763a35, v83
	s_delay_alu instid0(VALU_DEP_3)
	v_add_f32_e32 v36, v160, v39
	v_fmac_f32_e32 v179, 0xbf06c442, v83
	v_dual_add_f32 v39, v51, v43 :: v_dual_fmac_f32 v206, 0xbf65296c, v81
	v_fma_f32 v43, 0xbe8c1d8e, v89, -v191
	v_add_f32_e32 v38, v44, v38
	v_fma_f32 v44, 0xbf1a4643, v94, -v156
	v_add_f32_e32 v51, v179, v36
	;; [unrolled: 2-line block ×4, first 2 shown]
	v_add_f32_e32 v38, v161, v51
	v_fma_f32 v51, 0x3ee437d1, v86, -v205
	s_delay_alu instid0(VALU_DEP_4) | instskip(SKIP_1) | instid1(VALU_DEP_3)
	v_dual_fmac_f32 v198, 0xbf763a35, v82 :: v_dual_add_f32 v39, v43, v39
	v_fma_f32 v43, 0x3ee437d1, v91, -v192
	v_dual_fmac_f32 v144, 0x3eb8f4ab, v88 :: v_dual_add_f32 v51, v32, v51
	v_fmac_f32_e32 v40, 0xbf06c442, v85
	s_delay_alu instid0(VALU_DEP_3) | instskip(SKIP_1) | instid1(VALU_DEP_4)
	v_dual_fmac_f32 v42, 0xbe3c28d5, v88 :: v_dual_add_f32 v39, v43, v39
	v_fma_f32 v43, 0xbf59a7d5, v93, -v168
	v_add_f32_e32 v51, v53, v51
	v_fma_f32 v53, 0xbf7ba420, v89, -v212
	v_fmac_f32_e32 v195, 0xbe3c28d5, v79
	v_fma_f32 v55, 0xbf59a7d5, v94, -v202
	v_add_f32_e32 v43, v43, v39
	v_add_f32_e32 v39, v142, v38
	v_fmac_f32_e32 v197, 0x3f06c442, v82
	v_fmac_f32_e32 v203, 0xbeb8f4ab, v84
	;; [unrolled: 1-line block ×3, first 2 shown]
	v_add_f32_e32 v38, v54, v43
	v_add_f32_e32 v43, v53, v51
	v_fma_f32 v51, 0xbe8c1d8e, v90, -v213
	v_fma_f32 v53, 0x3f3d2fb0, v94, -v178
	v_dual_add_f32 v54, v33, v209 :: v_dual_fmac_f32 v41, 0xbf4c4adb, v83
	s_delay_alu instid0(VALU_DEP_3) | instskip(SKIP_1) | instid1(VALU_DEP_4)
	v_add_f32_e32 v43, v51, v43
	v_fma_f32 v51, 0x3f3d2fb0, v91, -v215
	v_add_f32_e32 v38, v53, v38
	s_delay_alu instid0(VALU_DEP_4) | instskip(SKIP_1) | instid1(VALU_DEP_4)
	v_add_f32_e32 v53, v210, v54
	v_fma_f32 v54, 0x3f3d2fb0, v86, -v218
	v_add_f32_e32 v43, v51, v43
	v_fma_f32 v51, 0x3f6eb680, v93, -v216
	s_delay_alu instid0(VALU_DEP_4) | instskip(NEXT) | instid1(VALU_DEP_2)
	v_add_f32_e32 v53, v194, v53
	v_add_f32_e32 v43, v51, v43
	v_fma_f32 v51, 0x3dbcf732, v92, -v217
	s_delay_alu instid0(VALU_DEP_3) | instskip(NEXT) | instid1(VALU_DEP_2)
	v_add_f32_e32 v53, v195, v53
	v_add_f32_e32 v43, v51, v43
	;; [unrolled: 1-line block ×3, first 2 shown]
	v_fma_f32 v54, 0x3dbcf732, v87, -v219
	s_delay_alu instid0(VALU_DEP_4) | instskip(NEXT) | instid1(VALU_DEP_4)
	v_add_f32_e32 v53, v197, v53
	v_add_f32_e32 v43, v55, v43
	v_fma_f32 v55, 0x3f6eb680, v86, -v154
	s_delay_alu instid0(VALU_DEP_4) | instskip(SKIP_1) | instid1(VALU_DEP_3)
	v_add_f32_e32 v51, v54, v51
	v_fma_f32 v54, 0xbf1a4643, v89, -v220
	v_dual_add_f32 v53, v170, v53 :: v_dual_add_f32 v32, v32, v55
	s_delay_alu instid0(VALU_DEP_2) | instskip(SKIP_1) | instid1(VALU_DEP_3)
	v_add_f32_e32 v51, v54, v51
	v_fma_f32 v54, 0xbf7ba420, v90, -v214
	v_add_f32_e32 v32, v45, v32
	v_fma_f32 v45, 0x3ee437d1, v89, -v46
	s_delay_alu instid0(VALU_DEP_3) | instskip(SKIP_1) | instid1(VALU_DEP_3)
	v_add_f32_e32 v51, v54, v51
	v_fma_f32 v54, 0xbf59a7d5, v91, -v201
	v_add_f32_e32 v32, v45, v32
	v_fma_f32 v45, 0x3dbcf732, v90, -v52
	v_add_f32_e32 v52, v157, v53
	v_add_f32_e32 v44, v33, v193
	;; [unrolled: 1-line block ×4, first 2 shown]
	v_fma_f32 v51, 0xbe8c1d8e, v93, -v200
	v_add_f32_e32 v32, v45, v32
	v_fma_f32 v45, 0xbe8c1d8e, v91, -v49
	v_add_f32_e32 v33, v204, v33
	;; [unrolled: 2-line block ×3, first 2 shown]
	v_add_f32_e32 v44, v169, v44
	s_delay_alu instid0(VALU_DEP_4) | instskip(SKIP_1) | instid1(VALU_DEP_4)
	v_dual_add_f32 v32, v45, v32 :: v_dual_add_f32 v33, v206, v33
	v_fma_f32 v45, 0xbf1a4643, v93, -v48
	v_add_f32_e32 v46, v49, v46
	s_delay_alu instid0(VALU_DEP_4) | instskip(SKIP_1) | instid1(VALU_DEP_4)
	v_add_f32_e32 v44, v175, v44
	v_fma_f32 v48, 0x3f6eb680, v94, -v221
	v_dual_add_f32 v33, v211, v33 :: v_dual_add_f32 v32, v45, v32
	v_fma_f32 v45, 0xbf59a7d5, v92, -v50
	s_delay_alu instid0(VALU_DEP_2) | instskip(NEXT) | instid1(VALU_DEP_2)
	v_dual_add_f32 v44, v176, v44 :: v_dual_add_f32 v33, v198, v33
	v_add_f32_e32 v45, v45, v32
	s_delay_alu instid0(VALU_DEP_2) | instskip(NEXT) | instid1(VALU_DEP_3)
	v_add_f32_e32 v44, v180, v44
	v_dual_add_f32 v32, v48, v46 :: v_dual_add_f32 v33, v41, v33
	v_mul_lo_u16 v41, v75, 17
	s_delay_alu instid0(VALU_DEP_3) | instskip(NEXT) | instid1(VALU_DEP_3)
	v_add_f32_e32 v44, v185, v44
	v_add_f32_e32 v40, v40, v33
	s_delay_alu instid0(VALU_DEP_3) | instskip(SKIP_1) | instid1(VALU_DEP_4)
	v_and_b32_e32 v41, 0xffff, v41
	v_add_f32_e32 v33, v144, v52
	v_add_f32_e32 v44, v181, v44
	s_delay_alu instid0(VALU_DEP_3) | instskip(SKIP_1) | instid1(VALU_DEP_3)
	v_lshl_add_u32 v49, v41, 3, v76
	v_add_f32_e32 v41, v42, v40
	v_add_f32_e32 v44, v151, v44
	;; [unrolled: 1-line block ×3, first 2 shown]
	ds_store_2addr_b64 v49, v[0:1], v[34:35] offset1:1
	ds_store_2addr_b64 v49, v[71:72], v[69:70] offset0:2 offset1:3
	ds_store_2addr_b64 v49, v[67:68], v[65:66] offset0:4 offset1:5
	;; [unrolled: 1-line block ×7, first 2 shown]
	ds_store_b64 v49, v[40:41] offset:128
.LBB0_13:
	s_wait_alu 0xfffe
	s_or_b32 exec_lo, exec_lo, s6
	global_wb scope:SCOPE_SE
	s_wait_dscnt 0x0
	s_barrier_signal -1
	s_barrier_wait -1
	global_inv scope:SCOPE_SE
	ds_load_2addr_b64 v[32:35], v78 offset1:17
	ds_load_2addr_b64 v[0:3], v78 offset0:34 offset1:51
	ds_load_2addr_b64 v[36:39], v78 offset0:68 offset1:85
	;; [unrolled: 1-line block ×5, first 2 shown]
	ds_load_b64 v[52:53], v78 offset:1632
	s_wait_dscnt 0x6
	v_mul_f32_e32 v54, v29, v35
	s_wait_dscnt 0x5
	v_dual_mul_f32 v4, v29, v34 :: v_dual_mul_f32 v5, v31, v0
	v_mul_f32_e32 v29, v31, v1
	s_delay_alu instid0(VALU_DEP_3)
	v_dual_mul_f32 v31, v25, v3 :: v_dual_fmac_f32 v54, v28, v34
	v_mul_f32_e32 v7, v25, v2
	s_wait_dscnt 0x4
	v_dual_mul_f32 v25, v27, v37 :: v_dual_mul_f32 v6, v17, v39
	v_mul_f32_e32 v27, v27, v36
	v_dual_fmac_f32 v29, v30, v0 :: v_dual_mul_f32 v0, v17, v38
	v_fma_f32 v28, v28, v35, -v4
	s_delay_alu instid0(VALU_DEP_4)
	v_fmac_f32_e32 v6, v16, v38
	v_fma_f32 v30, v30, v1, -v5
	s_wait_dscnt 0x3
	v_dual_fmac_f32 v31, v24, v2 :: v_dual_mul_f32 v2, v19, v41
	v_fma_f32 v24, v24, v3, -v7
	v_fma_f32 v7, v16, v39, -v0
	v_dual_mul_f32 v0, v19, v40 :: v_dual_add_f32 v1, v32, v54
	s_delay_alu instid0(VALU_DEP_4) | instskip(SKIP_2) | instid1(VALU_DEP_4)
	v_fmac_f32_e32 v2, v18, v40
	v_fmac_f32_e32 v25, v26, v36
	v_mul_f32_e32 v3, v9, v43
	v_fma_f32 v4, v18, v41, -v0
	v_add_f32_e32 v0, v1, v29
	s_wait_dscnt 0x1
	v_dual_add_f32 v5, v33, v28 :: v_dual_mul_f32 v16, v23, v49
	v_dual_fmac_f32 v3, v8, v42 :: v_dual_mul_f32 v18, v23, v48
	s_delay_alu instid0(VALU_DEP_2) | instskip(SKIP_3) | instid1(VALU_DEP_4)
	v_dual_add_f32 v0, v0, v31 :: v_dual_add_f32 v1, v5, v30
	v_mul_f32_e32 v5, v9, v42
	v_mul_f32_e32 v9, v11, v45
	v_fma_f32 v17, v26, v37, -v27
	v_dual_add_f32 v0, v0, v25 :: v_dual_add_f32 v1, v1, v24
	s_delay_alu instid0(VALU_DEP_4) | instskip(SKIP_1) | instid1(VALU_DEP_3)
	v_fma_f32 v5, v8, v43, -v5
	v_dual_mul_f32 v8, v11, v44 :: v_dual_mul_f32 v11, v21, v47
	v_dual_add_f32 v0, v0, v6 :: v_dual_fmac_f32 v9, v10, v44
	s_delay_alu instid0(VALU_DEP_4) | instskip(NEXT) | instid1(VALU_DEP_3)
	v_dual_add_f32 v1, v1, v17 :: v_dual_fmac_f32 v16, v22, v48
	v_fma_f32 v8, v10, v45, -v8
	v_mul_f32_e32 v10, v21, v46
	v_fmac_f32_e32 v11, v20, v46
	v_add_f32_e32 v0, v0, v2
	v_fma_f32 v18, v22, v49, -v18
	s_delay_alu instid0(VALU_DEP_4) | instskip(SKIP_4) | instid1(VALU_DEP_3)
	v_fma_f32 v10, v20, v47, -v10
	s_wait_dscnt 0x0
	v_mul_f32_e32 v20, v15, v52
	v_dual_mul_f32 v15, v15, v53 :: v_dual_add_f32 v0, v0, v3
	v_add_f32_e32 v1, v1, v7
	v_fma_f32 v20, v14, v53, -v20
	v_mul_f32_e32 v19, v13, v51
	v_mul_f32_e32 v13, v13, v50
	v_dual_fmac_f32 v15, v14, v52 :: v_dual_add_f32 v0, v0, v9
	s_delay_alu instid0(VALU_DEP_4) | instskip(SKIP_3) | instid1(VALU_DEP_4)
	v_add_f32_e32 v22, v28, v20
	v_sub_f32_e32 v14, v28, v20
	v_fmac_f32_e32 v19, v12, v50
	v_fma_f32 v12, v12, v51, -v13
	v_dual_add_f32 v13, v54, v15 :: v_dual_mul_f32 v28, 0x3f116cb1, v22
	v_sub_f32_e32 v23, v54, v15
	v_dual_add_f32 v1, v1, v4 :: v_dual_mul_f32 v38, 0x3df6dbef, v22
	v_mul_f32_e32 v36, 0xbf7e222b, v14
	v_mul_f32_e32 v44, 0xbf29c268, v14
	s_delay_alu instid0(VALU_DEP_4)
	v_fmamk_f32 v35, v23, 0x3f52af12, v28
	v_fmac_f32_e32 v28, 0xbf52af12, v23
	v_mul_f32_e32 v21, 0xbeedf032, v14
	v_add_f32_e32 v1, v1, v5
	v_fmamk_f32 v37, v13, 0x3df6dbef, v36
	v_fma_f32 v36, 0x3df6dbef, v13, -v36
	v_add_f32_e32 v28, v33, v28
	v_fmamk_f32 v26, v13, 0x3f62ad3f, v21
	v_fma_f32 v21, 0x3f62ad3f, v13, -v21
	v_dual_add_f32 v1, v1, v8 :: v_dual_fmamk_f32 v40, v23, 0x3f7e222b, v38
	v_dual_mul_f32 v27, 0x3f62ad3f, v22 :: v_dual_add_f32 v36, v32, v36
	s_delay_alu instid0(VALU_DEP_3) | instskip(NEXT) | instid1(VALU_DEP_3)
	v_add_f32_e32 v21, v32, v21
	v_add_f32_e32 v1, v1, v10
	s_delay_alu instid0(VALU_DEP_4) | instskip(SKIP_2) | instid1(VALU_DEP_4)
	v_add_f32_e32 v40, v33, v40
	v_add_f32_e32 v35, v33, v35
	v_dual_mul_f32 v45, 0xbf3f9e67, v22 :: v_dual_fmamk_f32 v46, v13, 0xbf3f9e67, v44
	v_add_f32_e32 v1, v1, v18
	v_fma_f32 v44, 0xbf3f9e67, v13, -v44
	v_fmac_f32_e32 v38, 0xbf7e222b, v23
	v_mul_f32_e32 v42, 0xbeb58ec6, v22
	v_mul_f32_e32 v39, 0xbf6f5d39, v14
	v_dual_add_f32 v1, v1, v12 :: v_dual_add_f32 v46, v32, v46
	s_delay_alu instid0(VALU_DEP_3) | instskip(NEXT) | instid1(VALU_DEP_2)
	v_dual_add_f32 v38, v33, v38 :: v_dual_fmamk_f32 v43, v23, 0x3f6f5d39, v42
	v_dual_fmac_f32 v42, 0xbf6f5d39, v23 :: v_dual_add_f32 v1, v1, v20
	v_fmamk_f32 v20, v23, 0x3eedf032, v27
	v_dual_fmamk_f32 v41, v13, 0xbeb58ec6, v39 :: v_dual_add_f32 v44, v32, v44
	v_fma_f32 v39, 0xbeb58ec6, v13, -v39
	s_delay_alu instid0(VALU_DEP_3) | instskip(SKIP_4) | instid1(VALU_DEP_4)
	v_dual_add_f32 v37, v32, v37 :: v_dual_add_f32 v20, v33, v20
	v_add_f32_e32 v0, v0, v11
	v_add_f32_e32 v43, v33, v43
	v_add_f32_e32 v41, v32, v41
	v_dual_add_f32 v39, v32, v39 :: v_dual_add_f32 v42, v33, v42
	v_add_f32_e32 v0, v0, v16
	v_sub_f32_e32 v49, v30, v12
	v_add_f32_e32 v12, v30, v12
	v_mul_f32_e32 v22, 0xbf788fa5, v22
	s_delay_alu instid0(VALU_DEP_4) | instskip(NEXT) | instid1(VALU_DEP_4)
	v_add_f32_e32 v0, v0, v19
	v_mul_f32_e32 v52, 0xbf52af12, v49
	v_mul_f32_e32 v30, 0xbf6f5d39, v49
	s_delay_alu instid0(VALU_DEP_4)
	v_fmamk_f32 v50, v23, 0x3e750f2a, v22
	v_fmac_f32_e32 v22, 0xbe750f2a, v23
	v_add_f32_e32 v0, v0, v15
	v_add_f32_e32 v15, v32, v26
	v_mul_f32_e32 v26, 0xbf52af12, v14
	v_mul_f32_e32 v14, 0xbe750f2a, v14
	s_delay_alu instid0(VALU_DEP_2) | instskip(SKIP_2) | instid1(VALU_DEP_4)
	v_fmamk_f32 v34, v13, 0x3f116cb1, v26
	v_fma_f32 v26, 0x3f116cb1, v13, -v26
	v_fmac_f32_e32 v27, 0xbeedf032, v23
	v_fmamk_f32 v48, v13, 0xbf788fa5, v14
	v_fmamk_f32 v47, v23, 0x3f29c268, v45
	s_delay_alu instid0(VALU_DEP_4) | instskip(NEXT) | instid1(VALU_DEP_3)
	v_dual_fmac_f32 v45, 0xbf29c268, v23 :: v_dual_add_f32 v26, v32, v26
	v_dual_add_f32 v27, v33, v27 :: v_dual_add_f32 v48, v32, v48
	s_delay_alu instid0(VALU_DEP_3) | instskip(NEXT) | instid1(VALU_DEP_3)
	v_add_f32_e32 v47, v33, v47
	v_add_f32_e32 v45, v33, v45
	;; [unrolled: 1-line block ×3, first 2 shown]
	v_fma_f32 v13, 0xbf788fa5, v13, -v14
	v_sub_f32_e32 v14, v29, v19
	v_add_f32_e32 v29, v33, v50
	v_dual_mul_f32 v23, 0x3f116cb1, v12 :: v_dual_add_f32 v22, v33, v22
	v_dual_fmamk_f32 v19, v51, 0x3f116cb1, v52 :: v_dual_add_f32 v34, v32, v34
	v_add_f32_e32 v13, v32, v13
	v_fma_f32 v32, 0x3f116cb1, v51, -v52
	s_delay_alu instid0(VALU_DEP_3) | instskip(SKIP_2) | instid1(VALU_DEP_4)
	v_dual_mul_f32 v50, 0xbf3f9e67, v12 :: v_dual_add_f32 v15, v19, v15
	v_fmamk_f32 v19, v14, 0x3f52af12, v23
	v_fmac_f32_e32 v23, 0xbf52af12, v14
	v_add_f32_e32 v21, v32, v21
	s_delay_alu instid0(VALU_DEP_3) | instskip(SKIP_3) | instid1(VALU_DEP_3)
	v_dual_mul_f32 v32, 0xbe750f2a, v49 :: v_dual_add_f32 v19, v19, v20
	v_fmamk_f32 v20, v51, 0xbeb58ec6, v30
	v_fma_f32 v30, 0xbeb58ec6, v51, -v30
	v_mul_f32_e32 v33, 0xbeb58ec6, v12
	v_dual_add_f32 v23, v23, v27 :: v_dual_add_f32 v20, v20, v34
	v_fmamk_f32 v34, v51, 0xbf788fa5, v32
	s_delay_alu instid0(VALU_DEP_4) | instskip(SKIP_3) | instid1(VALU_DEP_2)
	v_add_f32_e32 v26, v30, v26
	v_mul_f32_e32 v30, 0x3f29c268, v49
	v_fma_f32 v32, 0xbf788fa5, v51, -v32
	v_fmamk_f32 v27, v14, 0x3f6f5d39, v33
	v_dual_fmac_f32 v33, 0xbf6f5d39, v14 :: v_dual_add_f32 v32, v32, v36
	s_delay_alu instid0(VALU_DEP_1) | instskip(SKIP_4) | instid1(VALU_DEP_3)
	v_dual_add_f32 v27, v27, v35 :: v_dual_add_f32 v28, v33, v28
	v_add_f32_e32 v33, v34, v37
	v_fmamk_f32 v37, v51, 0xbf3f9e67, v30
	v_mul_f32_e32 v35, 0xbf788fa5, v12
	v_fma_f32 v30, 0xbf3f9e67, v51, -v30
	v_add_f32_e32 v36, v37, v41
	s_delay_alu instid0(VALU_DEP_3) | instskip(NEXT) | instid1(VALU_DEP_3)
	v_fmamk_f32 v34, v14, 0x3e750f2a, v35
	v_dual_fmac_f32 v35, 0xbe750f2a, v14 :: v_dual_add_f32 v30, v30, v39
	v_fmamk_f32 v37, v14, 0xbf29c268, v50
	s_delay_alu instid0(VALU_DEP_2) | instskip(SKIP_1) | instid1(VALU_DEP_1)
	v_dual_add_f32 v34, v34, v40 :: v_dual_add_f32 v35, v35, v38
	v_mul_f32_e32 v38, 0x3f7e222b, v49
	v_fmamk_f32 v41, v51, 0x3df6dbef, v38
	v_fma_f32 v38, 0x3df6dbef, v51, -v38
	s_delay_alu instid0(VALU_DEP_1) | instskip(SKIP_4) | instid1(VALU_DEP_3)
	v_add_f32_e32 v38, v38, v44
	v_sub_f32_e32 v44, v24, v18
	v_dual_mul_f32 v40, 0x3df6dbef, v12 :: v_dual_add_f32 v37, v37, v43
	v_dual_mul_f32 v43, 0x3eedf032, v49 :: v_dual_add_f32 v18, v24, v18
	v_add_f32_e32 v41, v41, v46
	v_fmamk_f32 v39, v14, 0xbf7e222b, v40
	v_mul_f32_e32 v12, 0x3f62ad3f, v12
	s_delay_alu instid0(VALU_DEP_4) | instskip(SKIP_2) | instid1(VALU_DEP_2)
	v_fmamk_f32 v46, v51, 0x3f62ad3f, v43
	v_fmac_f32_e32 v40, 0x3f7e222b, v14
	v_fma_f32 v24, 0x3f62ad3f, v51, -v43
	v_dual_mul_f32 v43, 0xbf788fa5, v18 :: v_dual_add_f32 v40, v40, v45
	v_dual_fmac_f32 v50, 0x3f29c268, v14 :: v_dual_add_f32 v39, v39, v47
	v_add_f32_e32 v45, v46, v48
	v_dual_fmamk_f32 v46, v14, 0xbeedf032, v12 :: v_dual_add_f32 v47, v31, v16
	v_dual_mul_f32 v48, 0xbf7e222b, v44 :: v_dual_add_f32 v13, v24, v13
	s_delay_alu instid0(VALU_DEP_4) | instskip(NEXT) | instid1(VALU_DEP_3)
	v_add_f32_e32 v42, v50, v42
	v_dual_add_f32 v29, v46, v29 :: v_dual_fmac_f32 v12, 0x3eedf032, v14
	v_dual_sub_f32 v14, v31, v16 :: v_dual_mul_f32 v31, 0x3df6dbef, v18
	s_delay_alu instid0(VALU_DEP_4) | instskip(SKIP_1) | instid1(VALU_DEP_2)
	v_fma_f32 v24, 0x3df6dbef, v47, -v48
	v_fmamk_f32 v16, v47, 0x3df6dbef, v48
	v_dual_mul_f32 v46, 0x3f62ad3f, v18 :: v_dual_add_f32 v21, v24, v21
	s_delay_alu instid0(VALU_DEP_2)
	v_add_f32_e32 v15, v16, v15
	v_add_f32_e32 v12, v12, v22
	v_fmamk_f32 v16, v14, 0x3f7e222b, v31
	v_mul_f32_e32 v22, 0xbe750f2a, v44
	v_fmac_f32_e32 v31, 0xbf7e222b, v14
	v_fmamk_f32 v24, v14, 0x3e750f2a, v43
	v_fmac_f32_e32 v43, 0xbe750f2a, v14
	s_delay_alu instid0(VALU_DEP_3) | instskip(SKIP_1) | instid1(VALU_DEP_1)
	v_add_f32_e32 v23, v31, v23
	v_dual_add_f32 v16, v16, v19 :: v_dual_fmamk_f32 v19, v47, 0xbf788fa5, v22
	v_add_f32_e32 v19, v19, v20
	v_fma_f32 v20, 0xbf788fa5, v47, -v22
	v_dual_mul_f32 v31, 0x3f6f5d39, v44 :: v_dual_add_f32 v22, v24, v27
	v_mul_f32_e32 v27, 0xbeb58ec6, v18
	s_delay_alu instid0(VALU_DEP_3) | instskip(NEXT) | instid1(VALU_DEP_3)
	v_add_f32_e32 v20, v20, v26
	v_fmamk_f32 v24, v47, 0xbeb58ec6, v31
	v_add_f32_e32 v26, v43, v28
	v_fma_f32 v31, 0xbeb58ec6, v47, -v31
	s_delay_alu instid0(VALU_DEP_3) | instskip(SKIP_2) | instid1(VALU_DEP_4)
	v_dual_add_f32 v24, v24, v33 :: v_dual_fmamk_f32 v33, v14, 0xbf6f5d39, v27
	v_fmac_f32_e32 v27, 0x3f6f5d39, v14
	v_mul_f32_e32 v28, 0x3eedf032, v44
	v_add_f32_e32 v31, v31, v32
	s_delay_alu instid0(VALU_DEP_4) | instskip(NEXT) | instid1(VALU_DEP_3)
	v_dual_add_f32 v33, v33, v34 :: v_dual_fmamk_f32 v34, v14, 0xbeedf032, v46
	v_fmamk_f32 v43, v47, 0x3f62ad3f, v28
	v_add_f32_e32 v27, v27, v35
	v_mul_f32_e32 v35, 0xbf52af12, v44
	v_fma_f32 v28, 0x3f62ad3f, v47, -v28
	s_delay_alu instid0(VALU_DEP_2) | instskip(NEXT) | instid1(VALU_DEP_2)
	v_dual_add_f32 v34, v34, v37 :: v_dual_fmamk_f32 v37, v47, 0x3f116cb1, v35
	v_add_f32_e32 v28, v28, v30
	v_add_f32_e32 v32, v43, v36
	v_mul_f32_e32 v36, 0x3f116cb1, v18
	v_fma_f32 v35, 0x3f116cb1, v47, -v35
	v_dual_add_f32 v37, v37, v41 :: v_dual_mul_f32 v18, 0xbf3f9e67, v18
	s_delay_alu instid0(VALU_DEP_3) | instskip(NEXT) | instid1(VALU_DEP_3)
	v_dual_add_f32 v41, v25, v11 :: v_dual_fmamk_f32 v30, v14, 0x3f52af12, v36
	v_add_f32_e32 v35, v35, v38
	v_mul_f32_e32 v43, 0xbf29c268, v44
	v_dual_fmac_f32 v36, 0xbf52af12, v14 :: v_dual_sub_f32 v11, v25, v11
	s_delay_alu instid0(VALU_DEP_2) | instskip(SKIP_1) | instid1(VALU_DEP_3)
	v_dual_add_f32 v30, v30, v39 :: v_dual_fmamk_f32 v39, v47, 0xbf3f9e67, v43
	v_fmac_f32_e32 v46, 0x3eedf032, v14
	v_add_f32_e32 v36, v36, v40
	v_fmamk_f32 v40, v14, 0x3f29c268, v18
	s_delay_alu instid0(VALU_DEP_4) | instskip(NEXT) | instid1(VALU_DEP_4)
	v_dual_sub_f32 v38, v17, v10 :: v_dual_add_f32 v39, v39, v45
	v_add_f32_e32 v42, v46, v42
	v_add_f32_e32 v10, v17, v10
	v_fma_f32 v17, 0xbf3f9e67, v47, -v43
	v_fmac_f32_e32 v18, 0xbf29c268, v14
	s_delay_alu instid0(VALU_DEP_3) | instskip(NEXT) | instid1(VALU_DEP_3)
	v_mul_f32_e32 v25, 0xbeb58ec6, v10
	v_add_f32_e32 v13, v17, v13
	v_dual_add_f32 v29, v40, v29 :: v_dual_mul_f32 v44, 0xbf6f5d39, v38
	v_mul_f32_e32 v17, 0x3f29c268, v38
	s_delay_alu instid0(VALU_DEP_2) | instskip(NEXT) | instid1(VALU_DEP_1)
	v_fmamk_f32 v14, v41, 0xbeb58ec6, v44
	v_dual_add_f32 v14, v14, v15 :: v_dual_fmamk_f32 v15, v11, 0x3f6f5d39, v25
	v_fmac_f32_e32 v25, 0xbf6f5d39, v11
	v_mul_f32_e32 v40, 0xbf3f9e67, v10
	v_mul_f32_e32 v43, 0x3df6dbef, v10
	s_delay_alu instid0(VALU_DEP_4) | instskip(SKIP_4) | instid1(VALU_DEP_3)
	v_add_f32_e32 v15, v15, v16
	v_add_f32_e32 v12, v18, v12
	v_fma_f32 v18, 0xbeb58ec6, v41, -v44
	v_fmamk_f32 v16, v41, 0xbf3f9e67, v17
	v_fma_f32 v17, 0xbf3f9e67, v41, -v17
	v_dual_add_f32 v18, v18, v21 :: v_dual_add_f32 v21, v25, v23
	v_mul_f32_e32 v25, 0x3eedf032, v38
	v_fmamk_f32 v23, v11, 0xbf29c268, v40
	s_delay_alu instid0(VALU_DEP_4) | instskip(NEXT) | instid1(VALU_DEP_2)
	v_dual_fmac_f32 v40, 0x3f29c268, v11 :: v_dual_add_f32 v17, v17, v20
	v_dual_add_f32 v16, v16, v19 :: v_dual_add_f32 v19, v23, v22
	v_mul_f32_e32 v23, 0x3f62ad3f, v10
	s_delay_alu instid0(VALU_DEP_3) | instskip(SKIP_1) | instid1(VALU_DEP_1)
	v_add_f32_e32 v20, v40, v26
	v_mul_f32_e32 v26, 0xbf7e222b, v38
	v_fmamk_f32 v40, v41, 0x3df6dbef, v26
	v_fmamk_f32 v22, v41, 0x3f62ad3f, v25
	v_fma_f32 v25, 0x3f62ad3f, v41, -v25
	s_delay_alu instid0(VALU_DEP_2) | instskip(SKIP_2) | instid1(VALU_DEP_4)
	v_add_f32_e32 v22, v22, v24
	v_fmamk_f32 v24, v11, 0xbeedf032, v23
	v_fmac_f32_e32 v23, 0x3eedf032, v11
	v_add_f32_e32 v25, v25, v31
	v_fmamk_f32 v31, v11, 0x3f7e222b, v43
	v_fma_f32 v26, 0x3df6dbef, v41, -v26
	s_delay_alu instid0(VALU_DEP_4) | instskip(SKIP_1) | instid1(VALU_DEP_4)
	v_dual_add_f32 v24, v24, v33 :: v_dual_add_f32 v23, v23, v27
	v_mul_f32_e32 v33, 0xbf788fa5, v10
	v_add_f32_e32 v31, v31, v34
	v_dual_add_f32 v27, v40, v32 :: v_dual_mul_f32 v32, 0x3e750f2a, v38
	v_dual_fmac_f32 v43, 0xbf7e222b, v11 :: v_dual_add_f32 v26, v26, v28
	s_delay_alu instid0(VALU_DEP_4) | instskip(SKIP_4) | instid1(VALU_DEP_3)
	v_fmamk_f32 v28, v11, 0xbe750f2a, v33
	v_mul_f32_e32 v38, 0x3f52af12, v38
	v_fmac_f32_e32 v33, 0x3e750f2a, v11
	v_fmamk_f32 v34, v41, 0xbf788fa5, v32
	v_fma_f32 v32, 0xbf788fa5, v41, -v32
	v_dual_mul_f32 v10, 0x3f116cb1, v10 :: v_dual_add_f32 v33, v33, v36
	s_delay_alu instid0(VALU_DEP_3) | instskip(NEXT) | instid1(VALU_DEP_3)
	v_add_f32_e32 v34, v34, v37
	v_dual_add_f32 v32, v32, v35 :: v_dual_sub_f32 v35, v7, v8
	s_delay_alu instid0(VALU_DEP_3) | instskip(SKIP_2) | instid1(VALU_DEP_3)
	v_dual_fmamk_f32 v36, v11, 0xbf52af12, v10 :: v_dual_add_f32 v37, v6, v9
	v_add_f32_e32 v28, v28, v30
	v_dual_fmamk_f32 v30, v41, 0x3f116cb1, v38 :: v_dual_add_f32 v7, v7, v8
	v_dual_add_f32 v29, v36, v29 :: v_dual_add_f32 v40, v43, v42
	v_fmac_f32_e32 v10, 0x3f52af12, v11
	s_delay_alu instid0(VALU_DEP_3) | instskip(NEXT) | instid1(VALU_DEP_4)
	v_dual_sub_f32 v6, v6, v9 :: v_dual_mul_f32 v11, 0xbf3f9e67, v7
	v_add_f32_e32 v30, v30, v39
	v_mul_f32_e32 v39, 0xbf29c268, v35
	v_fma_f32 v8, 0x3f116cb1, v41, -v38
	v_mul_f32_e32 v36, 0x3df6dbef, v7
	v_mul_f32_e32 v38, 0xbf788fa5, v7
	s_delay_alu instid0(VALU_DEP_3) | instskip(SKIP_1) | instid1(VALU_DEP_2)
	v_dual_fmamk_f32 v9, v37, 0xbf3f9e67, v39 :: v_dual_add_f32 v8, v8, v13
	v_dual_mul_f32 v13, 0x3f7e222b, v35 :: v_dual_add_f32 v10, v10, v12
	v_dual_fmamk_f32 v12, v6, 0x3f29c268, v11 :: v_dual_add_f32 v9, v9, v14
	v_fma_f32 v14, 0xbf3f9e67, v37, -v39
	s_delay_alu instid0(VALU_DEP_2) | instskip(NEXT) | instid1(VALU_DEP_2)
	v_dual_fmac_f32 v11, 0xbf29c268, v6 :: v_dual_add_f32 v12, v12, v15
	v_dual_fmamk_f32 v15, v37, 0x3df6dbef, v13 :: v_dual_add_f32 v14, v14, v18
	s_delay_alu instid0(VALU_DEP_2) | instskip(SKIP_1) | instid1(VALU_DEP_3)
	v_dual_add_f32 v11, v11, v21 :: v_dual_fmamk_f32 v18, v6, 0xbf7e222b, v36
	v_mul_f32_e32 v21, 0xbf52af12, v35
	v_add_f32_e32 v15, v15, v16
	v_fma_f32 v13, 0x3df6dbef, v37, -v13
	s_delay_alu instid0(VALU_DEP_4) | instskip(NEXT) | instid1(VALU_DEP_4)
	v_add_f32_e32 v16, v18, v19
	v_dual_fmamk_f32 v18, v37, 0x3f116cb1, v21 :: v_dual_mul_f32 v19, 0x3f116cb1, v7
	v_fma_f32 v21, 0x3f116cb1, v37, -v21
	s_delay_alu instid0(VALU_DEP_2) | instskip(NEXT) | instid1(VALU_DEP_3)
	v_dual_add_f32 v13, v13, v17 :: v_dual_add_f32 v18, v18, v22
	v_fmamk_f32 v22, v6, 0x3f52af12, v19
	v_fmac_f32_e32 v19, 0xbf52af12, v6
	s_delay_alu instid0(VALU_DEP_4) | instskip(NEXT) | instid1(VALU_DEP_3)
	v_dual_add_f32 v21, v21, v25 :: v_dual_fmac_f32 v36, 0x3f7e222b, v6
	v_dual_mul_f32 v25, 0x3eedf032, v35 :: v_dual_add_f32 v22, v22, v24
	s_delay_alu instid0(VALU_DEP_3) | instskip(NEXT) | instid1(VALU_DEP_3)
	v_dual_fmamk_f32 v24, v6, 0xbe750f2a, v38 :: v_dual_add_f32 v19, v19, v23
	v_add_f32_e32 v17, v36, v20
	s_delay_alu instid0(VALU_DEP_2) | instskip(SKIP_3) | instid1(VALU_DEP_3)
	v_dual_add_f32 v24, v24, v31 :: v_dual_fmamk_f32 v31, v37, 0x3f62ad3f, v25
	v_mul_f32_e32 v20, 0x3e750f2a, v35
	v_mul_f32_e32 v35, 0xbf6f5d39, v35
	v_fma_f32 v25, 0x3f62ad3f, v37, -v25
	v_dual_add_f32 v31, v31, v34 :: v_dual_fmamk_f32 v36, v37, 0xbf788fa5, v20
	v_fma_f32 v20, 0xbf788fa5, v37, -v20
	s_delay_alu instid0(VALU_DEP_3) | instskip(NEXT) | instid1(VALU_DEP_3)
	v_add_f32_e32 v25, v25, v32
	v_add_f32_e32 v23, v36, v27
	s_delay_alu instid0(VALU_DEP_3) | instskip(SKIP_1) | instid1(VALU_DEP_2)
	v_dual_mul_f32 v27, 0x3f62ad3f, v7 :: v_dual_add_f32 v20, v20, v26
	v_mul_f32_e32 v7, 0xbeb58ec6, v7
	v_fmamk_f32 v26, v6, 0xbeedf032, v27
	s_delay_alu instid0(VALU_DEP_1) | instskip(NEXT) | instid1(VALU_DEP_1)
	v_dual_fmac_f32 v27, 0x3eedf032, v6 :: v_dual_add_f32 v26, v26, v28
	v_dual_fmamk_f32 v28, v37, 0xbeb58ec6, v35 :: v_dual_add_f32 v27, v27, v33
	s_delay_alu instid0(VALU_DEP_1) | instskip(SKIP_2) | instid1(VALU_DEP_2)
	v_dual_add_f32 v33, v2, v3 :: v_dual_add_f32 v28, v28, v30
	v_fmamk_f32 v30, v6, 0x3f6f5d39, v7
	v_fmac_f32_e32 v7, 0xbf6f5d39, v6
	v_dual_add_f32 v29, v30, v29 :: v_dual_fmac_f32 v38, 0x3e750f2a, v6
	s_delay_alu instid0(VALU_DEP_1)
	v_add_f32_e32 v36, v38, v40
	v_add_f32_e32 v38, v4, v5
	v_sub_f32_e32 v32, v4, v5
	v_fma_f32 v4, 0xbeb58ec6, v37, -v35
	v_sub_f32_e32 v35, v2, v3
	v_add_f32_e32 v37, v7, v10
	v_mul_f32_e32 v5, 0xbf788fa5, v38
	v_mul_f32_e32 v34, 0xbe750f2a, v32
	;; [unrolled: 1-line block ×3, first 2 shown]
	s_delay_alu instid0(VALU_DEP_3) | instskip(SKIP_1) | instid1(VALU_DEP_4)
	v_dual_add_f32 v30, v4, v8 :: v_dual_fmamk_f32 v3, v35, 0x3e750f2a, v5
	v_fmac_f32_e32 v5, 0xbe750f2a, v35
	v_fmamk_f32 v2, v33, 0xbf788fa5, v34
	v_fma_f32 v4, 0xbf788fa5, v33, -v34
	v_fma_f32 v10, 0x3f62ad3f, v33, -v7
	v_add_f32_e32 v3, v3, v12
	s_delay_alu instid0(VALU_DEP_4)
	v_dual_add_f32 v5, v5, v11 :: v_dual_add_f32 v2, v2, v9
	v_mul_f32_e32 v11, 0xbf29c268, v32
	v_mul_f32_e32 v9, 0x3f62ad3f, v38
	v_add_f32_e32 v4, v4, v14
	v_mul_f32_e32 v14, 0xbf3f9e67, v38
	v_fmamk_f32 v6, v33, 0x3f62ad3f, v7
	v_fmamk_f32 v12, v33, 0xbf3f9e67, v11
	;; [unrolled: 1-line block ×3, first 2 shown]
	v_fmac_f32_e32 v9, 0x3eedf032, v35
	s_delay_alu instid0(VALU_DEP_1) | instskip(NEXT) | instid1(VALU_DEP_3)
	v_add_f32_e32 v9, v9, v17
	v_dual_add_f32 v7, v8, v16 :: v_dual_add_f32 v8, v10, v13
	v_mul_f32_e32 v17, 0x3f116cb1, v38
	v_add_f32_e32 v10, v12, v18
	v_fmamk_f32 v12, v35, 0x3f29c268, v14
	v_fma_f32 v13, 0xbf3f9e67, v33, -v11
	s_delay_alu instid0(VALU_DEP_2) | instskip(SKIP_1) | instid1(VALU_DEP_2)
	v_dual_fmac_f32 v14, 0xbf29c268, v35 :: v_dual_add_f32 v11, v12, v22
	v_dual_add_f32 v6, v6, v15 :: v_dual_mul_f32 v15, 0x3f52af12, v32
	v_dual_add_f32 v12, v13, v21 :: v_dual_add_f32 v13, v14, v19
	v_mul_f32_e32 v19, 0xbf6f5d39, v32
	v_mul_f32_e32 v21, 0xbeb58ec6, v38
	s_delay_alu instid0(VALU_DEP_4) | instskip(SKIP_1) | instid1(VALU_DEP_4)
	v_fmamk_f32 v16, v33, 0x3f116cb1, v15
	v_fma_f32 v18, 0x3f116cb1, v33, -v15
	v_fma_f32 v22, 0xbeb58ec6, v33, -v19
	s_delay_alu instid0(VALU_DEP_3) | instskip(SKIP_2) | instid1(VALU_DEP_2)
	v_add_f32_e32 v14, v16, v23
	v_fmamk_f32 v16, v35, 0xbf52af12, v17
	v_fmac_f32_e32 v17, 0x3f52af12, v35
	v_add_f32_e32 v15, v16, v24
	v_add_f32_e32 v16, v18, v20
	v_fmamk_f32 v18, v33, 0xbeb58ec6, v19
	v_fmamk_f32 v20, v35, 0x3f6f5d39, v21
	v_mul_f32_e32 v23, 0x3f7e222b, v32
	v_mul_f32_e32 v32, 0x3df6dbef, v38
	v_fmac_f32_e32 v21, 0xbf6f5d39, v35
	v_dual_add_f32 v18, v18, v31 :: v_dual_add_f32 v17, v17, v36
	s_delay_alu instid0(VALU_DEP_3) | instskip(SKIP_1) | instid1(VALU_DEP_4)
	v_fmamk_f32 v24, v35, 0xbf7e222b, v32
	v_fmac_f32_e32 v32, 0x3f7e222b, v35
	v_add_f32_e32 v21, v21, v27
	v_dual_add_f32 v19, v20, v26 :: v_dual_add_f32 v20, v22, v25
	v_fmamk_f32 v22, v33, 0x3df6dbef, v23
	v_fma_f32 v25, 0x3df6dbef, v33, -v23
	s_delay_alu instid0(VALU_DEP_2) | instskip(NEXT) | instid1(VALU_DEP_2)
	v_dual_add_f32 v23, v24, v29 :: v_dual_add_f32 v22, v22, v28
	v_dual_add_f32 v24, v25, v30 :: v_dual_add_f32 v25, v32, v37
	ds_store_2addr_b64 v77, v[0:1], v[2:3] offset1:17
	ds_store_2addr_b64 v77, v[6:7], v[10:11] offset0:34 offset1:51
	ds_store_2addr_b64 v77, v[14:15], v[18:19] offset0:68 offset1:85
	;; [unrolled: 1-line block ×5, first 2 shown]
	ds_store_b64 v77, v[4:5] offset:1632
	global_wb scope:SCOPE_SE
	s_wait_dscnt 0x0
	s_barrier_signal -1
	s_barrier_wait -1
	global_inv scope:SCOPE_SE
	s_and_b32 exec_lo, exec_lo, vcc_lo
	s_cbranch_execz .LBB0_15
; %bb.14:
	global_load_b64 v[0:1], v74, s[4:5]
	ds_load_b64 v[2:3], v77
	v_mad_co_u64_u32 v[6:7], null, s0, v75, 0
	s_mov_b32 s6, 0x1288b013
	s_mov_b32 s7, 0x3f7288b0
	s_wait_loadcnt_dscnt 0x0
	v_mul_f32_e32 v4, v3, v1
	v_mul_f32_e32 v1, v2, v1
	s_delay_alu instid0(VALU_DEP_2) | instskip(NEXT) | instid1(VALU_DEP_2)
	v_fmac_f32_e32 v4, v2, v0
	v_fma_f32 v2, v0, v3, -v1
	s_delay_alu instid0(VALU_DEP_2) | instskip(NEXT) | instid1(VALU_DEP_2)
	v_cvt_f64_f32_e32 v[0:1], v4
	v_cvt_f64_f32_e32 v[2:3], v2
	v_mad_co_u64_u32 v[4:5], null, s2, v56, 0
	s_wait_alu 0xfffe
	s_delay_alu instid0(VALU_DEP_3) | instskip(NEXT) | instid1(VALU_DEP_3)
	v_mul_f64_e32 v[0:1], s[6:7], v[0:1]
	v_mul_f64_e32 v[2:3], s[6:7], v[2:3]
	s_delay_alu instid0(VALU_DEP_2) | instskip(NEXT) | instid1(VALU_DEP_2)
	v_cvt_f32_f64_e32 v0, v[0:1]
	v_cvt_f32_f64_e32 v1, v[2:3]
	v_dual_mov_b32 v3, v7 :: v_dual_mov_b32 v2, v5
	s_delay_alu instid0(VALU_DEP_1) | instskip(SKIP_2) | instid1(VALU_DEP_2)
	v_mad_co_u64_u32 v[7:8], null, s3, v56, v[2:3]
	v_mad_co_u64_u32 v[2:3], null, s1, v75, v[3:4]
	s_mul_u64 s[2:3], s[0:1], 0x68
	v_mov_b32_e32 v5, v7
	s_delay_alu instid0(VALU_DEP_2) | instskip(NEXT) | instid1(VALU_DEP_2)
	v_mov_b32_e32 v7, v2
	v_lshlrev_b64_e32 v[2:3], 3, v[4:5]
	s_delay_alu instid0(VALU_DEP_2) | instskip(NEXT) | instid1(VALU_DEP_2)
	v_lshlrev_b64_e32 v[4:5], 3, v[6:7]
	v_add_co_u32 v8, vcc_lo, s12, v2
	s_delay_alu instid0(VALU_DEP_3) | instskip(NEXT) | instid1(VALU_DEP_2)
	v_add_co_ci_u32_e32 v9, vcc_lo, s13, v3, vcc_lo
	v_add_co_u32 v4, vcc_lo, v8, v4
	s_wait_alu 0xfffd
	s_delay_alu instid0(VALU_DEP_2)
	v_add_co_ci_u32_e32 v5, vcc_lo, v9, v5, vcc_lo
	global_store_b64 v[4:5], v[0:1], off
	global_load_b64 v[6:7], v74, s[4:5] offset:104
	ds_load_2addr_b64 v[0:3], v77 offset0:13 offset1:26
	s_wait_alu 0xfffe
	v_add_co_u32 v4, vcc_lo, v4, s2
	s_wait_alu 0xfffd
	v_add_co_ci_u32_e32 v5, vcc_lo, s3, v5, vcc_lo
	s_wait_loadcnt_dscnt 0x0
	v_mul_f32_e32 v10, v1, v7
	v_mul_f32_e32 v7, v0, v7
	s_delay_alu instid0(VALU_DEP_2) | instskip(NEXT) | instid1(VALU_DEP_2)
	v_fmac_f32_e32 v10, v0, v6
	v_fma_f32 v6, v6, v1, -v7
	s_delay_alu instid0(VALU_DEP_2) | instskip(NEXT) | instid1(VALU_DEP_2)
	v_cvt_f64_f32_e32 v[0:1], v10
	v_cvt_f64_f32_e32 v[6:7], v6
	s_delay_alu instid0(VALU_DEP_2) | instskip(NEXT) | instid1(VALU_DEP_2)
	v_mul_f64_e32 v[0:1], s[6:7], v[0:1]
	v_mul_f64_e32 v[6:7], s[6:7], v[6:7]
	s_delay_alu instid0(VALU_DEP_2) | instskip(NEXT) | instid1(VALU_DEP_2)
	v_cvt_f32_f64_e32 v0, v[0:1]
	v_cvt_f32_f64_e32 v1, v[6:7]
	global_store_b64 v[4:5], v[0:1], off
	global_load_b64 v[0:1], v74, s[4:5] offset:208
	v_add_co_u32 v4, vcc_lo, v4, s2
	s_wait_alu 0xfffd
	v_add_co_ci_u32_e32 v5, vcc_lo, s3, v5, vcc_lo
	s_wait_loadcnt 0x0
	v_mul_f32_e32 v6, v3, v1
	v_mul_f32_e32 v1, v2, v1
	s_delay_alu instid0(VALU_DEP_2) | instskip(NEXT) | instid1(VALU_DEP_2)
	v_fmac_f32_e32 v6, v2, v0
	v_fma_f32 v2, v0, v3, -v1
	s_delay_alu instid0(VALU_DEP_2) | instskip(NEXT) | instid1(VALU_DEP_2)
	v_cvt_f64_f32_e32 v[0:1], v6
	v_cvt_f64_f32_e32 v[2:3], v2
	s_delay_alu instid0(VALU_DEP_2) | instskip(NEXT) | instid1(VALU_DEP_2)
	v_mul_f64_e32 v[0:1], s[6:7], v[0:1]
	v_mul_f64_e32 v[2:3], s[6:7], v[2:3]
	s_delay_alu instid0(VALU_DEP_2) | instskip(NEXT) | instid1(VALU_DEP_2)
	v_cvt_f32_f64_e32 v0, v[0:1]
	v_cvt_f32_f64_e32 v1, v[2:3]
	global_store_b64 v[4:5], v[0:1], off
	global_load_b64 v[6:7], v74, s[4:5] offset:312
	ds_load_2addr_b64 v[0:3], v77 offset0:39 offset1:52
	v_add_co_u32 v4, vcc_lo, v4, s2
	s_wait_alu 0xfffd
	v_add_co_ci_u32_e32 v5, vcc_lo, s3, v5, vcc_lo
	s_wait_loadcnt_dscnt 0x0
	v_mul_f32_e32 v10, v1, v7
	v_mul_f32_e32 v7, v0, v7
	s_delay_alu instid0(VALU_DEP_2) | instskip(NEXT) | instid1(VALU_DEP_2)
	v_fmac_f32_e32 v10, v0, v6
	v_fma_f32 v6, v6, v1, -v7
	s_delay_alu instid0(VALU_DEP_2) | instskip(NEXT) | instid1(VALU_DEP_2)
	v_cvt_f64_f32_e32 v[0:1], v10
	v_cvt_f64_f32_e32 v[6:7], v6
	s_delay_alu instid0(VALU_DEP_2) | instskip(NEXT) | instid1(VALU_DEP_2)
	v_mul_f64_e32 v[0:1], s[6:7], v[0:1]
	v_mul_f64_e32 v[6:7], s[6:7], v[6:7]
	s_delay_alu instid0(VALU_DEP_2) | instskip(NEXT) | instid1(VALU_DEP_2)
	v_cvt_f32_f64_e32 v0, v[0:1]
	v_cvt_f32_f64_e32 v1, v[6:7]
	global_store_b64 v[4:5], v[0:1], off
	global_load_b64 v[0:1], v74, s[4:5] offset:416
	v_add_co_u32 v4, vcc_lo, v4, s2
	s_wait_alu 0xfffd
	v_add_co_ci_u32_e32 v5, vcc_lo, s3, v5, vcc_lo
	s_wait_loadcnt 0x0
	v_mul_f32_e32 v6, v3, v1
	v_mul_f32_e32 v1, v2, v1
	s_delay_alu instid0(VALU_DEP_2) | instskip(NEXT) | instid1(VALU_DEP_2)
	v_fmac_f32_e32 v6, v2, v0
	v_fma_f32 v2, v0, v3, -v1
	s_delay_alu instid0(VALU_DEP_2) | instskip(NEXT) | instid1(VALU_DEP_2)
	v_cvt_f64_f32_e32 v[0:1], v6
	v_cvt_f64_f32_e32 v[2:3], v2
	s_delay_alu instid0(VALU_DEP_2) | instskip(NEXT) | instid1(VALU_DEP_2)
	v_mul_f64_e32 v[0:1], s[6:7], v[0:1]
	v_mul_f64_e32 v[2:3], s[6:7], v[2:3]
	s_delay_alu instid0(VALU_DEP_2) | instskip(NEXT) | instid1(VALU_DEP_2)
	v_cvt_f32_f64_e32 v0, v[0:1]
	v_cvt_f32_f64_e32 v1, v[2:3]
	global_store_b64 v[4:5], v[0:1], off
	global_load_b64 v[6:7], v74, s[4:5] offset:520
	ds_load_2addr_b64 v[0:3], v77 offset0:65 offset1:78
	;; [unrolled: 41-line block ×7, first 2 shown]
	v_add_co_u32 v4, vcc_lo, v4, s2
	s_wait_alu 0xfffd
	v_add_co_ci_u32_e32 v5, vcc_lo, s3, v5, vcc_lo
	s_wait_loadcnt_dscnt 0x0
	v_mul_f32_e32 v10, v1, v7
	v_mul_f32_e32 v7, v0, v7
	s_delay_alu instid0(VALU_DEP_2) | instskip(NEXT) | instid1(VALU_DEP_2)
	v_fmac_f32_e32 v10, v0, v6
	v_fma_f32 v6, v6, v1, -v7
	s_delay_alu instid0(VALU_DEP_2) | instskip(NEXT) | instid1(VALU_DEP_2)
	v_cvt_f64_f32_e32 v[0:1], v10
	v_cvt_f64_f32_e32 v[6:7], v6
	s_delay_alu instid0(VALU_DEP_2) | instskip(NEXT) | instid1(VALU_DEP_2)
	v_mul_f64_e32 v[0:1], s[6:7], v[0:1]
	v_mul_f64_e32 v[6:7], s[6:7], v[6:7]
	s_delay_alu instid0(VALU_DEP_2) | instskip(NEXT) | instid1(VALU_DEP_2)
	v_cvt_f32_f64_e32 v0, v[0:1]
	v_cvt_f32_f64_e32 v1, v[6:7]
	global_store_b64 v[4:5], v[0:1], off
	global_load_b64 v[0:1], v74, s[4:5] offset:1664
	s_wait_loadcnt 0x0
	v_mul_f32_e32 v4, v3, v1
	v_mul_f32_e32 v1, v2, v1
	s_delay_alu instid0(VALU_DEP_2) | instskip(NEXT) | instid1(VALU_DEP_2)
	v_fmac_f32_e32 v4, v2, v0
	v_fma_f32 v2, v0, v3, -v1
	s_delay_alu instid0(VALU_DEP_2) | instskip(NEXT) | instid1(VALU_DEP_2)
	v_cvt_f64_f32_e32 v[0:1], v4
	v_cvt_f64_f32_e32 v[2:3], v2
	v_mad_co_u64_u32 v[4:5], null, s0, v73, 0
	s_delay_alu instid0(VALU_DEP_3) | instskip(NEXT) | instid1(VALU_DEP_3)
	v_mul_f64_e32 v[0:1], s[6:7], v[0:1]
	v_mul_f64_e32 v[2:3], s[6:7], v[2:3]
	s_delay_alu instid0(VALU_DEP_2) | instskip(NEXT) | instid1(VALU_DEP_2)
	v_cvt_f32_f64_e32 v0, v[0:1]
	v_cvt_f32_f64_e32 v1, v[2:3]
	v_mov_b32_e32 v2, v5
	s_delay_alu instid0(VALU_DEP_1) | instskip(NEXT) | instid1(VALU_DEP_1)
	v_mad_co_u64_u32 v[2:3], null, s1, v73, v[2:3]
	v_mov_b32_e32 v5, v2
	s_delay_alu instid0(VALU_DEP_1) | instskip(NEXT) | instid1(VALU_DEP_1)
	v_lshlrev_b64_e32 v[2:3], 3, v[4:5]
	v_add_co_u32 v2, vcc_lo, v8, v2
	s_wait_alu 0xfffd
	s_delay_alu instid0(VALU_DEP_2)
	v_add_co_ci_u32_e32 v3, vcc_lo, v9, v3, vcc_lo
	global_store_b64 v[2:3], v[0:1], off
.LBB0_15:
	s_nop 0
	s_sendmsg sendmsg(MSG_DEALLOC_VGPRS)
	s_endpgm
	.section	.rodata,"a",@progbits
	.p2align	6, 0x0
	.amdhsa_kernel bluestein_single_fwd_len221_dim1_sp_op_CI_CI
		.amdhsa_group_segment_fixed_size 12376
		.amdhsa_private_segment_fixed_size 0
		.amdhsa_kernarg_size 104
		.amdhsa_user_sgpr_count 2
		.amdhsa_user_sgpr_dispatch_ptr 0
		.amdhsa_user_sgpr_queue_ptr 0
		.amdhsa_user_sgpr_kernarg_segment_ptr 1
		.amdhsa_user_sgpr_dispatch_id 0
		.amdhsa_user_sgpr_private_segment_size 0
		.amdhsa_wavefront_size32 1
		.amdhsa_uses_dynamic_stack 0
		.amdhsa_enable_private_segment 0
		.amdhsa_system_sgpr_workgroup_id_x 1
		.amdhsa_system_sgpr_workgroup_id_y 0
		.amdhsa_system_sgpr_workgroup_id_z 0
		.amdhsa_system_sgpr_workgroup_info 0
		.amdhsa_system_vgpr_workitem_id 0
		.amdhsa_next_free_vgpr 227
		.amdhsa_next_free_sgpr 14
		.amdhsa_reserve_vcc 1
		.amdhsa_float_round_mode_32 0
		.amdhsa_float_round_mode_16_64 0
		.amdhsa_float_denorm_mode_32 3
		.amdhsa_float_denorm_mode_16_64 3
		.amdhsa_fp16_overflow 0
		.amdhsa_workgroup_processor_mode 1
		.amdhsa_memory_ordered 1
		.amdhsa_forward_progress 0
		.amdhsa_round_robin_scheduling 0
		.amdhsa_exception_fp_ieee_invalid_op 0
		.amdhsa_exception_fp_denorm_src 0
		.amdhsa_exception_fp_ieee_div_zero 0
		.amdhsa_exception_fp_ieee_overflow 0
		.amdhsa_exception_fp_ieee_underflow 0
		.amdhsa_exception_fp_ieee_inexact 0
		.amdhsa_exception_int_div_zero 0
	.end_amdhsa_kernel
	.text
.Lfunc_end0:
	.size	bluestein_single_fwd_len221_dim1_sp_op_CI_CI, .Lfunc_end0-bluestein_single_fwd_len221_dim1_sp_op_CI_CI
                                        ; -- End function
	.section	.AMDGPU.csdata,"",@progbits
; Kernel info:
; codeLenInByte = 21924
; NumSgprs: 16
; NumVgprs: 227
; ScratchSize: 0
; MemoryBound: 0
; FloatMode: 240
; IeeeMode: 1
; LDSByteSize: 12376 bytes/workgroup (compile time only)
; SGPRBlocks: 1
; VGPRBlocks: 28
; NumSGPRsForWavesPerEU: 16
; NumVGPRsForWavesPerEU: 227
; Occupancy: 6
; WaveLimiterHint : 1
; COMPUTE_PGM_RSRC2:SCRATCH_EN: 0
; COMPUTE_PGM_RSRC2:USER_SGPR: 2
; COMPUTE_PGM_RSRC2:TRAP_HANDLER: 0
; COMPUTE_PGM_RSRC2:TGID_X_EN: 1
; COMPUTE_PGM_RSRC2:TGID_Y_EN: 0
; COMPUTE_PGM_RSRC2:TGID_Z_EN: 0
; COMPUTE_PGM_RSRC2:TIDIG_COMP_CNT: 0
	.text
	.p2alignl 7, 3214868480
	.fill 96, 4, 3214868480
	.type	__hip_cuid_540fb936e1ecdc8c,@object ; @__hip_cuid_540fb936e1ecdc8c
	.section	.bss,"aw",@nobits
	.globl	__hip_cuid_540fb936e1ecdc8c
__hip_cuid_540fb936e1ecdc8c:
	.byte	0                               ; 0x0
	.size	__hip_cuid_540fb936e1ecdc8c, 1

	.ident	"AMD clang version 19.0.0git (https://github.com/RadeonOpenCompute/llvm-project roc-6.4.0 25133 c7fe45cf4b819c5991fe208aaa96edf142730f1d)"
	.section	".note.GNU-stack","",@progbits
	.addrsig
	.addrsig_sym __hip_cuid_540fb936e1ecdc8c
	.amdgpu_metadata
---
amdhsa.kernels:
  - .args:
      - .actual_access:  read_only
        .address_space:  global
        .offset:         0
        .size:           8
        .value_kind:     global_buffer
      - .actual_access:  read_only
        .address_space:  global
        .offset:         8
        .size:           8
        .value_kind:     global_buffer
      - .actual_access:  read_only
        .address_space:  global
        .offset:         16
        .size:           8
        .value_kind:     global_buffer
      - .actual_access:  read_only
        .address_space:  global
        .offset:         24
        .size:           8
        .value_kind:     global_buffer
      - .actual_access:  read_only
        .address_space:  global
        .offset:         32
        .size:           8
        .value_kind:     global_buffer
      - .offset:         40
        .size:           8
        .value_kind:     by_value
      - .address_space:  global
        .offset:         48
        .size:           8
        .value_kind:     global_buffer
      - .address_space:  global
        .offset:         56
        .size:           8
        .value_kind:     global_buffer
      - .address_space:  global
        .offset:         64
        .size:           8
        .value_kind:     global_buffer
      - .address_space:  global
        .offset:         72
        .size:           8
        .value_kind:     global_buffer
      - .offset:         80
        .size:           4
        .value_kind:     by_value
      - .address_space:  global
        .offset:         88
        .size:           8
        .value_kind:     global_buffer
      - .address_space:  global
        .offset:         96
        .size:           8
        .value_kind:     global_buffer
    .group_segment_fixed_size: 12376
    .kernarg_segment_align: 8
    .kernarg_segment_size: 104
    .language:       OpenCL C
    .language_version:
      - 2
      - 0
    .max_flat_workgroup_size: 119
    .name:           bluestein_single_fwd_len221_dim1_sp_op_CI_CI
    .private_segment_fixed_size: 0
    .sgpr_count:     16
    .sgpr_spill_count: 0
    .symbol:         bluestein_single_fwd_len221_dim1_sp_op_CI_CI.kd
    .uniform_work_group_size: 1
    .uses_dynamic_stack: false
    .vgpr_count:     227
    .vgpr_spill_count: 0
    .wavefront_size: 32
    .workgroup_processor_mode: 1
amdhsa.target:   amdgcn-amd-amdhsa--gfx1201
amdhsa.version:
  - 1
  - 2
...

	.end_amdgpu_metadata
